;; amdgpu-corpus repo=ROCm/rocFFT kind=compiled arch=gfx950 opt=O3
	.text
	.amdgcn_target "amdgcn-amd-amdhsa--gfx950"
	.amdhsa_code_object_version 6
	.protected	fft_rtc_back_len1734_factors_17_17_6_wgs_102_tpt_102_halfLds_sp_ip_CI_unitstride_sbrr_R2C_dirReg ; -- Begin function fft_rtc_back_len1734_factors_17_17_6_wgs_102_tpt_102_halfLds_sp_ip_CI_unitstride_sbrr_R2C_dirReg
	.globl	fft_rtc_back_len1734_factors_17_17_6_wgs_102_tpt_102_halfLds_sp_ip_CI_unitstride_sbrr_R2C_dirReg
	.p2align	8
	.type	fft_rtc_back_len1734_factors_17_17_6_wgs_102_tpt_102_halfLds_sp_ip_CI_unitstride_sbrr_R2C_dirReg,@function
fft_rtc_back_len1734_factors_17_17_6_wgs_102_tpt_102_halfLds_sp_ip_CI_unitstride_sbrr_R2C_dirReg: ; @fft_rtc_back_len1734_factors_17_17_6_wgs_102_tpt_102_halfLds_sp_ip_CI_unitstride_sbrr_R2C_dirReg
; %bb.0:
	s_load_dwordx2 s[8:9], s[0:1], 0x50
	s_load_dwordx4 s[4:7], s[0:1], 0x0
	s_load_dwordx2 s[10:11], s[0:1], 0x18
	v_mul_u32_u24_e32 v1, 0x283, v0
	v_add_u32_sdwa v6, s2, v1 dst_sel:DWORD dst_unused:UNUSED_PAD src0_sel:DWORD src1_sel:WORD_1
	v_mov_b32_e32 v4, 0
	s_waitcnt lgkmcnt(0)
	v_cmp_lt_u64_e64 s[2:3], s[6:7], 2
	v_mov_b32_e32 v7, v4
	s_and_b64 vcc, exec, s[2:3]
	v_mov_b64_e32 v[2:3], 0
	s_cbranch_vccnz .LBB0_8
; %bb.1:
	s_load_dwordx2 s[2:3], s[0:1], 0x10
	s_add_u32 s12, s10, 8
	s_addc_u32 s13, s11, 0
	s_mov_b64 s[14:15], 1
	v_mov_b64_e32 v[2:3], 0
	s_waitcnt lgkmcnt(0)
	s_add_u32 s16, s2, 8
	s_addc_u32 s17, s3, 0
.LBB0_2:                                ; =>This Inner Loop Header: Depth=1
	s_load_dwordx2 s[18:19], s[16:17], 0x0
                                        ; implicit-def: $vgpr8_vgpr9
	s_waitcnt lgkmcnt(0)
	v_or_b32_e32 v5, s19, v7
	v_cmp_ne_u64_e32 vcc, 0, v[4:5]
	s_and_saveexec_b64 s[2:3], vcc
	s_xor_b64 s[20:21], exec, s[2:3]
	s_cbranch_execz .LBB0_4
; %bb.3:                                ;   in Loop: Header=BB0_2 Depth=1
	v_cvt_f32_u32_e32 v1, s18
	v_cvt_f32_u32_e32 v5, s19
	s_sub_u32 s2, 0, s18
	s_subb_u32 s3, 0, s19
	v_fmac_f32_e32 v1, 0x4f800000, v5
	v_rcp_f32_e32 v1, v1
	s_nop 0
	v_mul_f32_e32 v1, 0x5f7ffffc, v1
	v_mul_f32_e32 v5, 0x2f800000, v1
	v_trunc_f32_e32 v5, v5
	v_fmac_f32_e32 v1, 0xcf800000, v5
	v_cvt_u32_f32_e32 v5, v5
	v_cvt_u32_f32_e32 v1, v1
	v_mul_lo_u32 v8, s2, v5
	v_mul_hi_u32 v10, s2, v1
	v_mul_lo_u32 v9, s3, v1
	v_add_u32_e32 v10, v10, v8
	v_mul_lo_u32 v12, s2, v1
	v_add_u32_e32 v13, v10, v9
	v_mul_hi_u32 v8, v1, v12
	v_mul_hi_u32 v11, v1, v13
	v_mul_lo_u32 v10, v1, v13
	v_mov_b32_e32 v9, v4
	v_lshl_add_u64 v[8:9], v[8:9], 0, v[10:11]
	v_mul_hi_u32 v11, v5, v12
	v_mul_lo_u32 v12, v5, v12
	v_add_co_u32_e32 v8, vcc, v8, v12
	v_mul_hi_u32 v10, v5, v13
	s_nop 0
	v_addc_co_u32_e32 v8, vcc, v9, v11, vcc
	v_mov_b32_e32 v9, v4
	s_nop 0
	v_addc_co_u32_e32 v11, vcc, 0, v10, vcc
	v_mul_lo_u32 v10, v5, v13
	v_lshl_add_u64 v[8:9], v[8:9], 0, v[10:11]
	v_add_co_u32_e32 v1, vcc, v1, v8
	v_mul_lo_u32 v10, s2, v1
	s_nop 0
	v_addc_co_u32_e32 v5, vcc, v5, v9, vcc
	v_mul_lo_u32 v8, s2, v5
	v_mul_hi_u32 v9, s2, v1
	v_add_u32_e32 v8, v9, v8
	v_mul_lo_u32 v9, s3, v1
	v_add_u32_e32 v12, v8, v9
	v_mul_hi_u32 v14, v5, v10
	v_mul_lo_u32 v15, v5, v10
	v_mul_hi_u32 v9, v1, v12
	v_mul_lo_u32 v8, v1, v12
	v_mul_hi_u32 v10, v1, v10
	v_mov_b32_e32 v11, v4
	v_lshl_add_u64 v[8:9], v[10:11], 0, v[8:9]
	v_add_co_u32_e32 v8, vcc, v8, v15
	v_mul_hi_u32 v13, v5, v12
	s_nop 0
	v_addc_co_u32_e32 v8, vcc, v9, v14, vcc
	v_mul_lo_u32 v10, v5, v12
	s_nop 0
	v_addc_co_u32_e32 v11, vcc, 0, v13, vcc
	v_mov_b32_e32 v9, v4
	v_lshl_add_u64 v[8:9], v[8:9], 0, v[10:11]
	v_add_co_u32_e32 v1, vcc, v1, v8
	v_mul_hi_u32 v10, v6, v1
	s_nop 0
	v_addc_co_u32_e32 v5, vcc, v5, v9, vcc
	v_mad_u64_u32 v[8:9], s[2:3], v6, v5, 0
	v_mov_b32_e32 v11, v4
	v_lshl_add_u64 v[8:9], v[10:11], 0, v[8:9]
	v_mad_u64_u32 v[12:13], s[2:3], v7, v1, 0
	v_add_co_u32_e32 v1, vcc, v8, v12
	v_mad_u64_u32 v[10:11], s[2:3], v7, v5, 0
	s_nop 0
	v_addc_co_u32_e32 v8, vcc, v9, v13, vcc
	v_mov_b32_e32 v9, v4
	s_nop 0
	v_addc_co_u32_e32 v11, vcc, 0, v11, vcc
	v_lshl_add_u64 v[8:9], v[8:9], 0, v[10:11]
	v_mul_lo_u32 v1, s19, v8
	v_mul_lo_u32 v5, s18, v9
	v_mad_u64_u32 v[10:11], s[2:3], s18, v8, 0
	v_add3_u32 v1, v11, v5, v1
	v_sub_u32_e32 v5, v7, v1
	v_mov_b32_e32 v11, s19
	v_sub_co_u32_e32 v14, vcc, v6, v10
	v_lshl_add_u64 v[12:13], v[8:9], 0, 1
	s_nop 0
	v_subb_co_u32_e64 v5, s[2:3], v5, v11, vcc
	v_subrev_co_u32_e64 v10, s[2:3], s18, v14
	v_subb_co_u32_e32 v1, vcc, v7, v1, vcc
	s_nop 0
	v_subbrev_co_u32_e64 v5, s[2:3], 0, v5, s[2:3]
	v_cmp_le_u32_e64 s[2:3], s19, v5
	v_cmp_le_u32_e32 vcc, s19, v1
	s_nop 0
	v_cndmask_b32_e64 v11, 0, -1, s[2:3]
	v_cmp_le_u32_e64 s[2:3], s18, v10
	s_nop 1
	v_cndmask_b32_e64 v10, 0, -1, s[2:3]
	v_cmp_eq_u32_e64 s[2:3], s19, v5
	s_nop 1
	v_cndmask_b32_e64 v5, v11, v10, s[2:3]
	v_lshl_add_u64 v[10:11], v[8:9], 0, 2
	v_cmp_ne_u32_e64 s[2:3], 0, v5
	s_nop 1
	v_cndmask_b32_e64 v5, v13, v11, s[2:3]
	v_cndmask_b32_e64 v11, 0, -1, vcc
	v_cmp_le_u32_e32 vcc, s18, v14
	s_nop 1
	v_cndmask_b32_e64 v13, 0, -1, vcc
	v_cmp_eq_u32_e32 vcc, s19, v1
	s_nop 1
	v_cndmask_b32_e32 v1, v11, v13, vcc
	v_cmp_ne_u32_e32 vcc, 0, v1
	v_cndmask_b32_e64 v1, v12, v10, s[2:3]
	s_nop 0
	v_cndmask_b32_e32 v9, v9, v5, vcc
	v_cndmask_b32_e32 v8, v8, v1, vcc
.LBB0_4:                                ;   in Loop: Header=BB0_2 Depth=1
	s_andn2_saveexec_b64 s[2:3], s[20:21]
	s_cbranch_execz .LBB0_6
; %bb.5:                                ;   in Loop: Header=BB0_2 Depth=1
	v_cvt_f32_u32_e32 v1, s18
	s_sub_i32 s20, 0, s18
	v_rcp_iflag_f32_e32 v1, v1
	s_nop 0
	v_mul_f32_e32 v1, 0x4f7ffffe, v1
	v_cvt_u32_f32_e32 v1, v1
	v_mul_lo_u32 v5, s20, v1
	v_mul_hi_u32 v5, v1, v5
	v_add_u32_e32 v1, v1, v5
	v_mul_hi_u32 v1, v6, v1
	v_mul_lo_u32 v5, v1, s18
	v_sub_u32_e32 v5, v6, v5
	v_add_u32_e32 v8, 1, v1
	v_subrev_u32_e32 v9, s18, v5
	v_cmp_le_u32_e32 vcc, s18, v5
	s_nop 1
	v_cndmask_b32_e32 v5, v5, v9, vcc
	v_cndmask_b32_e32 v1, v1, v8, vcc
	v_add_u32_e32 v8, 1, v1
	v_cmp_le_u32_e32 vcc, s18, v5
	v_mov_b32_e32 v9, v4
	s_nop 0
	v_cndmask_b32_e32 v8, v1, v8, vcc
.LBB0_6:                                ;   in Loop: Header=BB0_2 Depth=1
	s_or_b64 exec, exec, s[2:3]
	v_mad_u64_u32 v[10:11], s[2:3], v8, s18, 0
	s_load_dwordx2 s[2:3], s[12:13], 0x0
	v_mul_lo_u32 v1, v9, s18
	v_mul_lo_u32 v5, v8, s19
	v_add3_u32 v1, v11, v5, v1
	v_sub_co_u32_e32 v5, vcc, v6, v10
	s_add_u32 s14, s14, 1
	s_nop 0
	v_subb_co_u32_e32 v1, vcc, v7, v1, vcc
	s_addc_u32 s15, s15, 0
	s_waitcnt lgkmcnt(0)
	v_mul_lo_u32 v1, s2, v1
	v_mul_lo_u32 v6, s3, v5
	v_mad_u64_u32 v[2:3], s[2:3], s2, v5, v[2:3]
	s_add_u32 s12, s12, 8
	v_add3_u32 v3, v6, v3, v1
	s_addc_u32 s13, s13, 0
	v_mov_b64_e32 v[6:7], s[6:7]
	s_add_u32 s16, s16, 8
	v_cmp_ge_u64_e32 vcc, s[14:15], v[6:7]
	s_addc_u32 s17, s17, 0
	s_cbranch_vccnz .LBB0_9
; %bb.7:                                ;   in Loop: Header=BB0_2 Depth=1
	v_mov_b64_e32 v[6:7], v[8:9]
	s_branch .LBB0_2
.LBB0_8:
	v_mov_b64_e32 v[8:9], v[6:7]
.LBB0_9:
	s_lshl_b64 s[2:3], s[6:7], 3
	s_add_u32 s2, s10, s2
	s_addc_u32 s3, s11, s3
	s_load_dwordx2 s[6:7], s[2:3], 0x0
	s_load_dwordx2 s[10:11], s[0:1], 0x20
	s_mov_b32 s2, 0x2828283
                                        ; implicit-def: $vgpr144
                                        ; implicit-def: $vgpr238
	s_waitcnt lgkmcnt(0)
	v_mul_lo_u32 v1, s6, v9
	v_mul_lo_u32 v4, s7, v8
	v_mad_u64_u32 v[2:3], s[0:1], s6, v8, v[2:3]
	v_add3_u32 v3, v4, v3, v1
	v_mul_hi_u32 v1, v0, s2
	v_mul_u32_u24_e32 v1, 0x66, v1
	v_cmp_gt_u64_e64 s[0:1], s[10:11], v[8:9]
	v_cmp_le_u64_e32 vcc, s[10:11], v[8:9]
	v_sub_u32_e32 v26, v0, v1
	s_and_saveexec_b64 s[2:3], vcc
	s_xor_b64 s[2:3], exec, s[2:3]
; %bb.10:
	v_add_u32_e32 v144, 0x66, v26
	v_add_u32_e32 v238, 0xcc, v26
; %bb.11:
	s_or_saveexec_b64 s[2:3], s[2:3]
	v_lshl_add_u64 v[0:1], v[2:3], 3, s[8:9]
	v_accvgpr_write_b32 a0, v0
	v_accvgpr_write_b32 a1, v1
	v_lshl_add_u32 v50, v26, 3, 0
	s_xor_b64 exec, exec, s[2:3]
	s_cbranch_execz .LBB0_13
; %bb.12:
	v_accvgpr_read_b32 v0, a0
	v_mov_b32_e32 v27, 0
	v_accvgpr_read_b32 v1, a1
	v_lshl_add_u64 v[0:1], v[26:27], 3, v[0:1]
	s_movk_i32 s6, 0x1000
	v_add_co_u32_e32 v10, vcc, s6, v0
	s_movk_i32 s6, 0x2000
	s_nop 0
	v_addc_co_u32_e32 v11, vcc, 0, v1, vcc
	v_add_co_u32_e32 v24, vcc, s6, v0
	global_load_dwordx2 v[2:3], v[0:1], off
	global_load_dwordx2 v[4:5], v[0:1], off offset:816
	global_load_dwordx2 v[6:7], v[0:1], off offset:1632
	;; [unrolled: 1-line block ×7, first 2 shown]
	v_addc_co_u32_e32 v25, vcc, 0, v1, vcc
	global_load_dwordx2 v[28:29], v[10:11], off offset:2432
	global_load_dwordx2 v[30:31], v[10:11], off offset:3248
	;; [unrolled: 1-line block ×8, first 2 shown]
	v_add_co_u32_e32 v0, vcc, 0x3000, v0
	v_add_u32_e32 v144, 0x66, v26
	s_nop 0
	v_addc_co_u32_e32 v1, vcc, 0, v1, vcc
	global_load_dwordx2 v[0:1], v[0:1], off offset:768
	v_add_u32_e32 v238, 0xcc, v26
	v_add_u32_e32 v10, 0x400, v50
	;; [unrolled: 1-line block ×8, first 2 shown]
	s_waitcnt vmcnt(15)
	ds_write2_b64 v50, v[2:3], v[4:5] offset1:102
	s_waitcnt vmcnt(13)
	ds_write2_b64 v10, v[6:7], v[8:9] offset0:76 offset1:178
	s_waitcnt vmcnt(11)
	ds_write2_b64 v11, v[12:13], v[14:15] offset0:152 offset1:254
	;; [unrolled: 2-line block ×7, first 2 shown]
	s_waitcnt vmcnt(0)
	ds_write_b64 v50, v[0:1] offset:13056
.LBB0_13:
	s_or_b64 exec, exec, s[2:3]
	v_add_u32_e32 v4, 0x1000, v50
	s_waitcnt lgkmcnt(0)
	s_barrier
	ds_read2_b64 v[6:9], v4 offset0:100 offset1:202
	v_accvgpr_write_b32 a3, v4
	v_add_u32_e32 v4, 0x1800, v50
	ds_read2_b64 v[38:41], v4 offset0:48 offset1:150
	v_mov_b32_e32 v239, v4
	v_add_u32_e32 v4, 0x1c00, v50
	ds_read2_b64 v[10:13], v4 offset0:124 offset1:226
	v_add_u32_e32 v4, 0x2400, v50
	ds_read2_b64 v[14:17], v4 offset0:72 offset1:174
	v_add_u32_e32 v4, 0x2800, v50
	ds_read2_b64 v[0:3], v50 offset1:102
	ds_read2_b64 v[28:31], v4 offset0:148 offset1:250
	v_accvgpr_write_b32 a10, v4
	v_add_u32_e32 v4, 0x400, v50
	ds_read2_b64 v[32:35], v4 offset0:76 offset1:178
	v_add_u32_e32 v145, 0x800, v50
	ds_read2_b64 v[42:45], v145 offset0:152 offset1:254
	ds_read_b64 v[4:5], v50 offset:13056
	s_waitcnt lgkmcnt(4)
	v_pk_add_f32 v[18:19], v[0:1], v[2:3]
	s_mov_b32 s6, 0xbeb8f4ab
	s_waitcnt lgkmcnt(2)
	v_pk_add_f32 v[18:19], v[18:19], v[32:33]
	s_mov_b32 s2, 0x3f6eb680
	v_pk_add_f32 v[18:19], v[18:19], v[34:35]
	s_waitcnt lgkmcnt(0)
	v_pk_add_f32 v[76:77], v[2:3], v[4:5] neg_lo:[0,1] neg_hi:[0,1]
	v_pk_add_f32 v[18:19], v[18:19], v[42:43]
	v_pk_add_f32 v[74:75], v[4:5], v[2:3]
	;; [unrolled: 1-line block ×3, first 2 shown]
	v_pk_add_f32 v[84:85], v[32:33], v[30:31] neg_lo:[0,1] neg_hi:[0,1]
	v_pk_add_f32 v[18:19], v[18:19], v[6:7]
	s_mov_b32 s12, 0xbf2c7751
	v_pk_add_f32 v[18:19], v[18:19], v[8:9]
	v_pk_add_f32 v[80:81], v[30:31], v[32:33]
	;; [unrolled: 1-line block ×5, first 2 shown]
	v_pk_add_f32 v[132:133], v[8:9], v[10:11] neg_lo:[0,1] neg_hi:[0,1]
	v_pk_add_f32 v[18:19], v[18:19], v[10:11]
	s_mov_b32 s8, 0x3f3d2fb0
	v_pk_add_f32 v[18:19], v[18:19], v[12:13]
	v_pk_mul_f32 v[8:9], v[84:85], s[12:13] op_sel_hi:[1,0]
	v_pk_add_f32 v[18:19], v[18:19], v[14:15]
	v_pk_add_f32 v[118:119], v[12:13], v[6:7]
	;; [unrolled: 1-line block ×3, first 2 shown]
	v_pk_add_f32 v[124:125], v[6:7], v[12:13] neg_lo:[0,1] neg_hi:[0,1]
	v_pk_add_f32 v[18:19], v[18:19], v[28:29]
	v_pk_fma_f32 v[12:13], v[80:81], s[8:9], v[8:9] op_sel:[0,0,1] op_sel_hi:[1,0,0]
	v_pk_add_f32 v[18:19], v[18:19], v[30:31]
	v_pk_fma_f32 v[24:25], v[80:81], s[8:9], v[8:9] op_sel:[0,0,1] op_sel_hi:[1,0,0] neg_lo:[0,0,1] neg_hi:[0,0,1]
	v_pk_add_f32 v[46:47], v[18:19], v[4:5]
	v_pk_mul_f32 v[4:5], v[76:77], s[6:7] op_sel_hi:[1,0]
	v_pk_add_f32 v[92:93], v[34:35], v[28:29] neg_lo:[0,1] neg_hi:[0,1]
	v_pk_fma_f32 v[2:3], v[74:75], s[2:3], v[4:5] op_sel:[0,0,1] op_sel_hi:[1,0,0]
	v_pk_fma_f32 v[48:49], v[74:75], s[2:3], v[4:5] op_sel:[0,0,1] op_sel_hi:[1,0,0] neg_lo:[0,0,1] neg_hi:[0,0,1]
	v_mov_b32_e32 v6, v2
	v_mov_b32_e32 v7, v49
	v_pk_add_f32 v[10:11], v[0:1], v[6:7]
	v_accvgpr_write_b32 a7, v13
	v_mov_b32_e32 v13, v25
	s_mov_b32 s44, 0xbf65296c
	v_pk_add_f32 v[86:87], v[28:29], v[34:35]
	v_pk_add_f32 v[106:107], v[14:15], v[44:45]
	v_pk_add_f32 v[112:113], v[44:45], v[14:15] neg_lo:[0,1] neg_hi:[0,1]
	v_pk_add_f32 v[14:15], v[12:13], v[10:11]
	s_mov_b32 s16, 0x3ee437d1
	v_pk_mul_f32 v[12:13], v[92:93], s[44:45] op_sel_hi:[1,0]
	v_pk_add_f32 v[98:99], v[16:17], v[42:43]
	v_pk_add_f32 v[104:105], v[42:43], v[16:17] neg_lo:[0,1] neg_hi:[0,1]
	v_pk_fma_f32 v[16:17], v[86:87], s[16:17], v[12:13] op_sel:[0,0,1] op_sel_hi:[1,0,0]
	v_pk_fma_f32 v[20:21], v[86:87], s[16:17], v[12:13] op_sel:[0,0,1] op_sel_hi:[1,0,0] neg_lo:[0,0,1] neg_hi:[0,0,1]
	v_accvgpr_write_b32 a9, v17
	v_mov_b32_e32 v17, v21
	s_mov_b32 s40, 0xbf7ee86f
	v_pk_add_f32 v[18:19], v[16:17], v[14:15]
	s_mov_b32 s28, 0x3dbcf732
	v_pk_mul_f32 v[16:17], v[104:105], s[40:41] op_sel_hi:[1,0]
	s_mov_b32 s34, 0xbf763a35
	v_pk_fma_f32 v[28:29], v[98:99], s[28:29], v[16:17] op_sel:[0,0,1] op_sel_hi:[1,0,0]
	v_pk_fma_f32 v[16:17], v[98:99], s[28:29], v[16:17] op_sel:[0,0,1] op_sel_hi:[1,0,0] neg_lo:[0,0,1] neg_hi:[0,0,1]
	v_accvgpr_write_b32 a11, v29
	v_mov_b32_e32 v29, v17
	v_pk_add_f32 v[30:31], v[28:29], v[18:19]
	s_mov_b32 s22, 0xbe8c1d8e
	v_pk_mul_f32 v[28:29], v[112:113], s[34:35] op_sel_hi:[1,0]
	s_mov_b32 s36, 0xbf4c4adb
	v_pk_fma_f32 v[32:33], v[106:107], s[22:23], v[28:29] op_sel:[0,0,1] op_sel_hi:[1,0,0]
	v_pk_fma_f32 v[28:29], v[106:107], s[22:23], v[28:29] op_sel:[0,0,1] op_sel_hi:[1,0,0] neg_lo:[0,0,1] neg_hi:[0,0,1]
	v_accvgpr_write_b32 a13, v33
	v_mov_b32_e32 v33, v29
	;; [unrolled: 8-line block ×3, first 2 shown]
	v_pk_add_f32 v[42:43], v[36:37], v[34:35]
	s_mov_b32 s14, 0xbf59a7d5
	v_pk_mul_f32 v[36:37], v[132:133], s[38:39] op_sel_hi:[1,0]
	v_pk_add_f32 v[136:137], v[38:39], v[40:41] neg_lo:[0,1] neg_hi:[0,1]
	s_mov_b32 s10, 0xbe3c28d5
	v_pk_fma_f32 v[34:35], v[130:131], s[14:15], v[36:37] op_sel:[0,0,1] op_sel_hi:[1,0,0]
	v_pk_fma_f32 v[36:37], v[130:131], s[14:15], v[36:37] op_sel:[0,0,1] op_sel_hi:[1,0,0] neg_lo:[0,0,1] neg_hi:[0,0,1]
	v_pk_add_f32 v[134:135], v[40:41], v[38:39]
	s_mov_b32 s20, 0xbf7ba420
	v_pk_mul_f32 v[40:41], v[136:137], s[10:11] op_sel_hi:[1,0]
	v_accvgpr_write_b32 a28, v50            ;  Reload Reuse
	v_mov_b32_e32 v44, v34
	v_mov_b32_e32 v45, v37
	v_pk_fma_f32 v[38:39], v[134:135], s[20:21], v[40:41] op_sel:[0,0,1] op_sel_hi:[1,0,0]
	v_pk_fma_f32 v[40:41], v[134:135], s[20:21], v[40:41] op_sel:[0,0,1] op_sel_hi:[1,0,0] neg_lo:[0,0,1] neg_hi:[0,0,1]
	v_pk_add_f32 v[42:43], v[44:45], v[42:43]
	v_mov_b32_e32 v44, v38
	v_mov_b32_e32 v45, v41
	v_accvgpr_read_b32 v2, a28              ;  Reload Reuse
	v_accvgpr_write_b32 a23, v27            ;  Reload Reuse
	v_pk_add_f32 v[42:43], v[44:45], v[42:43]
	v_lshl_add_u32 v34, v26, 7, v2
	s_barrier
	ds_write2_b64 v34, v[46:47], v[42:43] offset1:1
	v_pk_mul_f32 v[42:43], v[76:77], s[12:13] op_sel_hi:[1,0]
	s_mov_b32 s50, 0x3f06c442
	v_pk_fma_f32 v[44:45], v[74:75], s[8:9], v[42:43] op_sel:[0,0,1] op_sel_hi:[1,0,0]
	v_pk_fma_f32 v[42:43], v[74:75], s[8:9], v[42:43] op_sel:[0,0,1] op_sel_hi:[1,0,0] neg_lo:[0,0,1] neg_hi:[0,0,1]
	v_mov_b32_e32 v46, v44
	v_mov_b32_e32 v47, v43
	v_pk_add_f32 v[50:51], v[0:1], v[46:47]
	v_pk_mul_f32 v[46:47], v[84:85], s[40:41] op_sel_hi:[1,0]
	s_mov_b32 s18, 0x3f763a35
	v_pk_fma_f32 v[30:31], v[80:81], s[28:29], v[46:47] op_sel:[0,0,1] op_sel_hi:[1,0,0]
	v_pk_fma_f32 v[46:47], v[80:81], s[28:29], v[46:47] op_sel:[0,0,1] op_sel_hi:[1,0,0] neg_lo:[0,0,1] neg_hi:[0,0,1]
	v_mov_b32_e32 v52, v30
	v_mov_b32_e32 v53, v47
	v_pk_add_f32 v[54:55], v[52:53], v[50:51]
	;; [unrolled: 7-line block ×8, first 2 shown]
	v_pk_mul_f32 v[78:79], v[76:77], s[44:45] op_sel_hi:[1,0]
	v_pk_mul_f32 v[210:211], v[84:85], s[18:19] op_sel_hi:[1,0]
	v_pk_fma_f32 v[82:83], v[74:75], s[16:17], v[78:79] op_sel:[0,0,1] op_sel_hi:[1,0,0]
	v_pk_fma_f32 v[78:79], v[74:75], s[16:17], v[78:79] op_sel:[0,0,1] op_sel_hi:[1,0,0] neg_lo:[0,0,1] neg_hi:[0,0,1]
	v_mov_b32_e32 v88, v82
	v_mov_b32_e32 v89, v79
	v_pk_add_f32 v[94:95], v[0:1], v[88:89]
	v_pk_mul_f32 v[88:89], v[84:85], s[36:37] op_sel_hi:[1,0]
	v_pk_fma_f32 v[212:213], v[80:81], s[22:23], v[210:211] op_sel:[0,0,1] op_sel_hi:[1,0,0]
	v_pk_fma_f32 v[90:91], v[80:81], s[26:27], v[88:89] op_sel:[0,0,1] op_sel_hi:[1,0,0]
	v_pk_fma_f32 v[88:89], v[80:81], s[26:27], v[88:89] op_sel:[0,0,1] op_sel_hi:[1,0,0] neg_lo:[0,0,1] neg_hi:[0,0,1]
	v_mov_b32_e32 v96, v90
	v_mov_b32_e32 v97, v89
	v_pk_add_f32 v[100:101], v[96:97], v[94:95]
	v_pk_mul_f32 v[96:97], v[92:93], s[52:53] op_sel_hi:[1,0]
	v_pk_fma_f32 v[210:211], v[80:81], s[22:23], v[210:211] op_sel:[0,0,1] op_sel_hi:[1,0,0] neg_lo:[0,0,1] neg_hi:[0,0,1]
	v_pk_fma_f32 v[94:95], v[86:87], s[20:21], v[96:97] op_sel:[0,0,1] op_sel_hi:[1,0,0]
	v_pk_fma_f32 v[96:97], v[86:87], s[20:21], v[96:97] op_sel:[0,0,1] op_sel_hi:[1,0,0] neg_lo:[0,0,1] neg_hi:[0,0,1]
	v_mov_b32_e32 v102, v94
	v_mov_b32_e32 v103, v97
	v_pk_add_f32 v[108:109], v[102:103], v[100:101]
	v_pk_mul_f32 v[102:103], v[104:105], s[18:19] op_sel_hi:[1,0]
	v_mov_b32_e32 v214, v212
	v_pk_fma_f32 v[100:101], v[98:99], s[22:23], v[102:103] op_sel:[0,0,1] op_sel_hi:[1,0,0]
	v_pk_fma_f32 v[102:103], v[98:99], s[22:23], v[102:103] op_sel:[0,0,1] op_sel_hi:[1,0,0] neg_lo:[0,0,1] neg_hi:[0,0,1]
	v_mov_b32_e32 v110, v100
	v_mov_b32_e32 v111, v103
	v_pk_add_f32 v[114:115], v[110:111], v[108:109]
	v_pk_mul_f32 v[110:111], v[112:113], s[30:31] op_sel_hi:[1,0]
	v_mov_b32_e32 v215, v211
	v_pk_fma_f32 v[108:109], v[106:107], s[8:9], v[110:111] op_sel:[0,0,1] op_sel_hi:[1,0,0]
	v_pk_fma_f32 v[110:111], v[106:107], s[8:9], v[110:111] op_sel:[0,0,1] op_sel_hi:[1,0,0] neg_lo:[0,0,1] neg_hi:[0,0,1]
	v_mov_b32_e32 v116, v108
	v_mov_b32_e32 v117, v111
	v_pk_add_f32 v[120:121], v[116:117], v[114:115]
	v_pk_mul_f32 v[116:117], v[124:125], s[6:7] op_sel_hi:[1,0]
	v_accvgpr_write_b32 a25, v26            ;  Reload Reuse
	v_pk_fma_f32 v[114:115], v[118:119], s[2:3], v[116:117] op_sel:[0,0,1] op_sel_hi:[1,0,0]
	v_pk_fma_f32 v[116:117], v[118:119], s[2:3], v[116:117] op_sel:[0,0,1] op_sel_hi:[1,0,0] neg_lo:[0,0,1] neg_hi:[0,0,1]
	v_mov_b32_e32 v122, v114
	v_mov_b32_e32 v123, v117
	v_pk_add_f32 v[126:127], v[122:123], v[120:121]
	v_pk_mul_f32 v[122:123], v[132:133], s[40:41] op_sel_hi:[1,0]
	v_pk_mul_f32 v[246:247], v[84:85], s[42:43] op_sel_hi:[1,0]
	v_pk_fma_f32 v[120:121], v[130:131], s[28:29], v[122:123] op_sel:[0,0,1] op_sel_hi:[1,0,0]
	v_pk_fma_f32 v[122:123], v[130:131], s[28:29], v[122:123] op_sel:[0,0,1] op_sel_hi:[1,0,0] neg_lo:[0,0,1] neg_hi:[0,0,1]
	v_mov_b32_e32 v128, v120
	v_mov_b32_e32 v129, v123
	v_pk_add_f32 v[140:141], v[128:129], v[126:127]
	v_pk_mul_f32 v[128:129], v[136:137], s[38:39] op_sel_hi:[1,0]
	v_pk_fma_f32 v[248:249], v[80:81], s[16:17], v[246:247] op_sel:[0,0,1] op_sel_hi:[1,0,0]
	v_pk_fma_f32 v[126:127], v[134:135], s[14:15], v[128:129] op_sel:[0,0,1] op_sel_hi:[1,0,0]
	v_pk_fma_f32 v[128:129], v[134:135], s[14:15], v[128:129] op_sel:[0,0,1] op_sel_hi:[1,0,0] neg_lo:[0,0,1] neg_hi:[0,0,1]
	v_mov_b32_e32 v142, v126
	v_mov_b32_e32 v143, v129
	v_pk_add_f32 v[140:141], v[142:143], v[140:141]
	ds_write2_b64 v34, v[138:139], v[140:141] offset0:2 offset1:3
	v_pk_mul_f32 v[138:139], v[76:77], s[40:41] op_sel_hi:[1,0]
	v_pk_fma_f32 v[246:247], v[80:81], s[16:17], v[246:247] op_sel:[0,0,1] op_sel_hi:[1,0,0] neg_lo:[0,0,1] neg_hi:[0,0,1]
	v_pk_fma_f32 v[140:141], v[74:75], s[28:29], v[138:139] op_sel:[0,0,1] op_sel_hi:[1,0,0]
	v_pk_fma_f32 v[138:139], v[74:75], s[28:29], v[138:139] op_sel:[0,0,1] op_sel_hi:[1,0,0] neg_lo:[0,0,1] neg_hi:[0,0,1]
	v_mov_b32_e32 v142, v140
	v_mov_b32_e32 v143, v139
	v_pk_add_f32 v[146:147], v[0:1], v[142:143]
	v_pk_mul_f32 v[142:143], v[84:85], s[10:11] op_sel_hi:[1,0]
	v_mov_b32_e32 v250, v248
	v_pk_fma_f32 v[18:19], v[80:81], s[20:21], v[142:143] op_sel:[0,0,1] op_sel_hi:[1,0,0]
	v_pk_fma_f32 v[142:143], v[80:81], s[20:21], v[142:143] op_sel:[0,0,1] op_sel_hi:[1,0,0] neg_lo:[0,0,1] neg_hi:[0,0,1]
	v_mov_b32_e32 v148, v18
	v_mov_b32_e32 v149, v143
	v_pk_add_f32 v[150:151], v[148:149], v[146:147]
	v_pk_mul_f32 v[148:149], v[92:93], s[18:19] op_sel_hi:[1,0]
	v_mov_b32_e32 v251, v247
	v_pk_fma_f32 v[146:147], v[86:87], s[22:23], v[148:149] op_sel:[0,0,1] op_sel_hi:[1,0,0]
	v_pk_fma_f32 v[148:149], v[86:87], s[22:23], v[148:149] op_sel:[0,0,1] op_sel_hi:[1,0,0] neg_lo:[0,0,1] neg_hi:[0,0,1]
	v_mov_b32_e32 v152, v146
	v_mov_b32_e32 v153, v149
	v_pk_add_f32 v[154:155], v[152:153], v[150:151]
	v_pk_mul_f32 v[152:153], v[104:105], s[24:25] op_sel_hi:[1,0]
	v_accvgpr_write_b32 a5, v3
	v_pk_fma_f32 v[150:151], v[98:99], s[2:3], v[152:153] op_sel:[0,0,1] op_sel_hi:[1,0,0]
	v_pk_fma_f32 v[152:153], v[98:99], s[2:3], v[152:153] op_sel:[0,0,1] op_sel_hi:[1,0,0] neg_lo:[0,0,1] neg_hi:[0,0,1]
	v_mov_b32_e32 v156, v150
	v_mov_b32_e32 v157, v153
	v_pk_add_f32 v[158:159], v[156:157], v[154:155]
	v_pk_mul_f32 v[156:157], v[112:113], s[44:45] op_sel_hi:[1,0]
	v_mov_b32_e32 v247, v249
	v_pk_fma_f32 v[154:155], v[106:107], s[16:17], v[156:157] op_sel:[0,0,1] op_sel_hi:[1,0,0]
	v_pk_fma_f32 v[156:157], v[106:107], s[16:17], v[156:157] op_sel:[0,0,1] op_sel_hi:[1,0,0] neg_lo:[0,0,1] neg_hi:[0,0,1]
	v_mov_b32_e32 v160, v154
	v_mov_b32_e32 v161, v157
	v_pk_add_f32 v[162:163], v[160:161], v[158:159]
	v_pk_mul_f32 v[160:161], v[124:125], s[38:39] op_sel_hi:[1,0]
	v_mov_b32_e32 v211, v213
	;; [unrolled: 7-line block ×12, first 2 shown]
	v_pk_fma_f32 v[198:199], v[134:135], s[26:27], v[200:201] op_sel:[0,0,1] op_sel_hi:[1,0,0]
	v_pk_fma_f32 v[200:201], v[134:135], s[26:27], v[200:201] op_sel:[0,0,1] op_sel_hi:[1,0,0] neg_lo:[0,0,1] neg_hi:[0,0,1]
	v_mov_b32_e32 v208, v198
	v_mov_b32_e32 v209, v201
	v_pk_add_f32 v[206:207], v[208:209], v[206:207]
	ds_write2_b64 v34, v[204:205], v[206:207] offset0:4 offset1:5
	v_pk_mul_f32 v[204:205], v[76:77], s[36:37] op_sel_hi:[1,0]
	v_mov_b32_e32 v193, v191
	v_pk_fma_f32 v[206:207], v[74:75], s[26:27], v[204:205] op_sel:[0,0,1] op_sel_hi:[1,0,0]
	v_pk_fma_f32 v[204:205], v[74:75], s[26:27], v[204:205] op_sel:[0,0,1] op_sel_hi:[1,0,0] neg_lo:[0,0,1] neg_hi:[0,0,1]
	v_mov_b32_e32 v208, v206
	v_mov_b32_e32 v209, v205
	v_pk_add_f32 v[208:209], v[0:1], v[208:209]
	v_mov_b32_e32 v205, v207
	v_pk_add_f32 v[208:209], v[214:215], v[208:209]
	v_pk_mul_f32 v[214:215], v[92:93], s[6:7] op_sel_hi:[1,0]
	v_mov_b32_e32 v161, v159
	v_pk_fma_f32 v[26:27], v[86:87], s[2:3], v[214:215] op_sel:[0,0,1] op_sel_hi:[1,0,0]
	v_pk_fma_f32 v[214:215], v[86:87], s[2:3], v[214:215] op_sel:[0,0,1] op_sel_hi:[1,0,0] neg_lo:[0,0,1] neg_hi:[0,0,1]
	v_mov_b32_e32 v220, v26
	v_mov_b32_e32 v221, v215
	v_pk_add_f32 v[208:209], v[220:221], v[208:209]
	v_pk_mul_f32 v[220:221], v[104:105], s[38:39] op_sel_hi:[1,0]
	v_mov_b32_e32 v215, v27
	v_pk_fma_f32 v[216:217], v[98:99], s[14:15], v[220:221] op_sel:[0,0,1] op_sel_hi:[1,0,0]
	v_pk_fma_f32 v[220:221], v[98:99], s[14:15], v[220:221] op_sel:[0,0,1] op_sel_hi:[1,0,0] neg_lo:[0,0,1] neg_hi:[0,0,1]
	v_mov_b32_e32 v224, v216
	;; [unrolled: 7-line block ×7, first 2 shown]
	v_mov_b32_e32 v245, v241
	v_pk_add_f32 v[244:245], v[0:1], v[244:245]
	v_mov_b32_e32 v241, v243
	v_pk_add_f32 v[244:245], v[250:251], v[244:245]
	v_pk_mul_f32 v[250:251], v[92:93], s[40:41] op_sel_hi:[1,0]
	v_mov_b32_e32 v197, v195
	v_pk_fma_f32 v[252:253], v[86:87], s[28:29], v[250:251] op_sel:[0,0,1] op_sel_hi:[1,0,0]
	v_pk_fma_f32 v[250:251], v[86:87], s[28:29], v[250:251] op_sel:[0,0,1] op_sel_hi:[1,0,0] neg_lo:[0,0,1] neg_hi:[0,0,1]
	v_mov_b32_e32 v254, v252
	v_mov_b32_e32 v255, v251
	v_pk_add_f32 v[244:245], v[254:255], v[244:245]
	v_pk_mul_f32 v[254:255], v[104:105], s[48:49] op_sel_hi:[1,0]
	v_mov_b32_e32 v251, v253
	v_pk_fma_f32 v[202:203], v[98:99], s[26:27], v[254:255] op_sel:[0,0,1] op_sel_hi:[1,0,0]
	v_pk_fma_f32 v[254:255], v[98:99], s[26:27], v[254:255] op_sel:[0,0,1] op_sel_hi:[1,0,0] neg_lo:[0,0,1] neg_hi:[0,0,1]
	v_mov_b32_e32 v22, v202
	;; [unrolled: 7-line block ×6, first 2 shown]
	v_mov_b32_e32 v7, v5
	v_pk_add_f32 v[2:3], v[6:7], v[2:3]
	ds_write2_b64 v34, v[208:209], v[2:3] offset0:6 offset1:7
	v_pk_mul_f32 v[2:3], v[76:77], s[10:11] op_sel_hi:[1,0]
	v_mov_b32_e32 v5, v9
	v_pk_fma_f32 v[6:7], v[74:75], s[20:21], v[2:3] op_sel:[0,0,1] op_sel_hi:[1,0,0]
	v_pk_fma_f32 v[2:3], v[74:75], s[20:21], v[2:3] op_sel:[0,0,1] op_sel_hi:[1,0,0] neg_lo:[0,0,1] neg_hi:[0,0,1]
	v_pk_mul_f32 v[74:75], v[84:85], s[24:25] op_sel_hi:[1,0]
	v_mov_b32_e32 v165, v163
	v_pk_fma_f32 v[76:77], v[80:81], s[2:3], v[74:75] op_sel:[0,0,1] op_sel_hi:[1,0,0]
	v_pk_fma_f32 v[74:75], v[80:81], s[2:3], v[74:75] op_sel:[0,0,1] op_sel_hi:[1,0,0] neg_lo:[0,0,1] neg_hi:[0,0,1]
	v_mov_b32_e32 v80, v6
	v_mov_b32_e32 v81, v3
	v_pk_add_f32 v[80:81], v[0:1], v[80:81]
	v_mov_b32_e32 v84, v76
	v_mov_b32_e32 v85, v75
	v_pk_add_f32 v[80:81], v[84:85], v[80:81]
	v_pk_mul_f32 v[84:85], v[92:93], s[38:39] op_sel_hi:[1,0]
	v_mov_b32_e32 v3, v7
	v_pk_fma_f32 v[92:93], v[86:87], s[14:15], v[84:85] op_sel:[0,0,1] op_sel_hi:[1,0,0]
	v_pk_fma_f32 v[84:85], v[86:87], s[14:15], v[84:85] op_sel:[0,0,1] op_sel_hi:[1,0,0] neg_lo:[0,0,1] neg_hi:[0,0,1]
	v_mov_b32_e32 v86, v92
	v_mov_b32_e32 v87, v85
	v_pk_add_f32 v[80:81], v[86:87], v[80:81]
	v_pk_mul_f32 v[86:87], v[104:105], s[30:31] op_sel_hi:[1,0]
	v_mov_b32_e32 v75, v77
	v_pk_fma_f32 v[104:105], v[98:99], s[8:9], v[86:87] op_sel:[0,0,1] op_sel_hi:[1,0,0]
	v_pk_fma_f32 v[86:87], v[98:99], s[8:9], v[86:87] op_sel:[0,0,1] op_sel_hi:[1,0,0] neg_lo:[0,0,1] neg_hi:[0,0,1]
	v_mov_b32_e32 v98, v104
	v_mov_b32_e32 v99, v87
	v_pk_add_f32 v[80:81], v[98:99], v[80:81]
	v_pk_mul_f32 v[98:99], v[112:113], s[36:37] op_sel_hi:[1,0]
	v_pk_add_f32 v[2:3], v[0:1], v[2:3]
	v_pk_fma_f32 v[112:113], v[106:107], s[26:27], v[98:99] op_sel:[0,0,1] op_sel_hi:[1,0,0]
	v_pk_fma_f32 v[98:99], v[106:107], s[26:27], v[98:99] op_sel:[0,0,1] op_sel_hi:[1,0,0] neg_lo:[0,0,1] neg_hi:[0,0,1]
	v_mov_b32_e32 v106, v112
	v_mov_b32_e32 v107, v99
	v_pk_add_f32 v[80:81], v[106:107], v[80:81]
	v_pk_mul_f32 v[106:107], v[124:125], s[42:43] op_sel_hi:[1,0]
	v_pk_add_f32 v[2:3], v[74:75], v[2:3]
	v_pk_fma_f32 v[124:125], v[118:119], s[16:17], v[106:107] op_sel:[0,0,1] op_sel_hi:[1,0,0]
	v_pk_fma_f32 v[106:107], v[118:119], s[16:17], v[106:107] op_sel:[0,0,1] op_sel_hi:[1,0,0] neg_lo:[0,0,1] neg_hi:[0,0,1]
	v_mov_b32_e32 v118, v124
	v_mov_b32_e32 v119, v107
	v_pk_add_f32 v[80:81], v[118:119], v[80:81]
	v_pk_mul_f32 v[118:119], v[132:133], s[34:35] op_sel_hi:[1,0]
	v_mov_b32_e32 v85, v93
	v_pk_fma_f32 v[132:133], v[130:131], s[22:23], v[118:119] op_sel:[0,0,1] op_sel_hi:[1,0,0]
	v_pk_fma_f32 v[118:119], v[130:131], s[22:23], v[118:119] op_sel:[0,0,1] op_sel_hi:[1,0,0] neg_lo:[0,0,1] neg_hi:[0,0,1]
	v_pk_add_f32 v[2:3], v[84:85], v[2:3]
	v_mov_b32_e32 v87, v105
	v_mov_b32_e32 v130, v132
	v_mov_b32_e32 v131, v119
	v_pk_add_f32 v[2:3], v[86:87], v[2:3]
	v_mov_b32_e32 v99, v113
	v_pk_add_f32 v[80:81], v[130:131], v[80:81]
	v_pk_mul_f32 v[130:131], v[136:137], s[46:47] op_sel_hi:[1,0]
	v_pk_add_f32 v[2:3], v[98:99], v[2:3]
	v_mov_b32_e32 v107, v125
	v_pk_fma_f32 v[136:137], v[134:135], s[28:29], v[130:131] op_sel:[0,0,1] op_sel_hi:[1,0,0]
	v_pk_fma_f32 v[130:131], v[134:135], s[28:29], v[130:131] op_sel:[0,0,1] op_sel_hi:[1,0,0] neg_lo:[0,0,1] neg_hi:[0,0,1]
	v_pk_add_f32 v[2:3], v[106:107], v[2:3]
	v_mov_b32_e32 v119, v133
	v_mov_b32_e32 v134, v136
	;; [unrolled: 1-line block ×3, first 2 shown]
	v_pk_add_f32 v[2:3], v[118:119], v[2:3]
	v_mov_b32_e32 v131, v137
	v_pk_add_f32 v[80:81], v[134:135], v[80:81]
	v_pk_add_f32 v[2:3], v[130:131], v[2:3]
	ds_write2_b64 v34, v[80:81], v[2:3] offset0:8 offset1:9
	v_pk_add_f32 v[2:3], v[0:1], v[240:241]
	v_mov_b32_e32 v201, v199
	v_pk_add_f32 v[2:3], v[246:247], v[2:3]
	v_mov_b32_e32 v169, v167
	;; [unrolled: 2-line block ×4, first 2 shown]
	v_pk_add_f32 v[2:3], v[244:245], v[2:3]
	v_accvgpr_read_b32 v49, a5
	v_pk_add_f32 v[2:3], v[218:219], v[2:3]
	v_accvgpr_read_b32 v25, a7
	v_pk_add_f32 v[2:3], v[22:23], v[2:3]
	v_accvgpr_read_b32 v21, a9
	v_pk_add_f32 v[2:3], v[4:5], v[2:3]
	v_pk_add_f32 v[4:5], v[0:1], v[204:205]
	v_accvgpr_read_b32 v17, a11
	v_pk_add_f32 v[4:5], v[210:211], v[4:5]
	v_mov_b32_e32 v89, v91
	v_pk_add_f32 v[4:5], v[214:215], v[4:5]
	v_mov_b32_e32 v47, v31
	v_pk_add_f32 v[4:5], v[220:221], v[4:5]
	v_accvgpr_read_b32 v29, a13
	v_pk_add_f32 v[4:5], v[224:225], v[4:5]
	v_mov_b32_e32 v97, v95
	v_pk_add_f32 v[4:5], v[228:229], v[4:5]
	v_mov_b32_e32 v53, v51
	v_pk_add_f32 v[4:5], v[232:233], v[4:5]
	v_accvgpr_read_b32 v33, a15
	v_pk_add_f32 v[4:5], v[236:237], v[4:5]
	ds_write2_b64 v34, v[2:3], v[4:5] offset0:10 offset1:11
	v_pk_add_f32 v[2:3], v[0:1], v[170:171]
	v_pk_add_f32 v[4:5], v[0:1], v[138:139]
	;; [unrolled: 1-line block ×16, first 2 shown]
	ds_write2_b64 v34, v[2:3], v[4:5] offset0:12 offset1:13
	v_pk_add_f32 v[2:3], v[0:1], v[78:79]
	v_pk_add_f32 v[4:5], v[0:1], v[42:43]
	;; [unrolled: 1-line block ×9, first 2 shown]
	v_mov_b32_e32 v103, v101
	v_pk_add_f32 v[0:1], v[28:29], v[0:1]
	v_pk_add_f32 v[4:5], v[52:53], v[4:5]
	v_mov_b32_e32 v57, v55
	v_pk_add_f32 v[0:1], v[32:33], v[0:1]
	v_mov_b32_e32 v37, v35
	;; [unrolled: 2-line block ×7, first 2 shown]
	v_pk_add_f32 v[0:1], v[40:41], v[0:1]
	v_pk_add_f32 v[2:3], v[116:117], v[2:3]
	v_mov_b32_e32 v123, v121
	v_pk_add_f32 v[4:5], v[64:65], v[4:5]
	v_mov_b32_e32 v69, v67
	ds_write_b64 v34, v[0:1] offset:128
	v_accvgpr_read_b32 v1, a23              ;  Reload Reuse
	v_pk_add_f32 v[2:3], v[122:123], v[2:3]
	v_mov_b32_e32 v129, v127
	v_pk_add_f32 v[4:5], v[68:69], v[4:5]
	v_mov_b32_e32 v73, v71
	s_movk_i32 s3, 0xf1
	v_accvgpr_read_b32 v0, a25              ;  Reload Reuse
	v_pk_add_f32 v[2:3], v[128:129], v[2:3]
	v_pk_add_f32 v[4:5], v[72:73], v[4:5]
	v_mul_lo_u16_sdwa v0, v0, s3 dst_sel:DWORD dst_unused:UNUSED_PAD src0_sel:BYTE_0 src1_sel:DWORD
	ds_write2_b64 v34, v[2:3], v[4:5] offset0:14 offset1:15
	v_lshrrev_b16_e32 v162, 12, v0
	v_accvgpr_read_b32 v3, a23              ;  Reload Reuse
	v_mul_lo_u16_e32 v0, 17, v162
	v_accvgpr_read_b32 v2, a25              ;  Reload Reuse
	v_sub_u16_e32 v163, v2, v0
	v_mov_b32_e32 v0, 7
	v_lshlrev_b32_sdwa v24, v0, v163 dst_sel:DWORD dst_unused:UNUSED_PAD src0_sel:DWORD src1_sel:BYTE_0
	s_waitcnt lgkmcnt(0)
	s_barrier
	global_load_dwordx4 v[8:11], v24, s[4:5]
	global_load_dwordx4 v[0:3], v24, s[4:5] offset:32
	global_load_dwordx4 v[4:7], v24, s[4:5] offset:48
	;; [unrolled: 1-line block ×7, first 2 shown]
	v_lshl_add_u32 v22, v144, 3, 0
	ds_read_b64 v[20:21], v22
	v_lshl_add_u32 v25, v238, 3, 0
	v_accvgpr_write_b32 a9, v22
	ds_read_b64 v[22:23], v25
	v_accvgpr_write_b32 a17, v25
	v_accvgpr_read_b32 v25, a28             ;  Reload Reuse
	v_add_u32_e32 v25, 0x1400, v25
	ds_read2_b64 v[32:35], v25 offset0:74 offset1:176
	ds_read2_b64 v[44:47], v239 offset0:150 offset1:252
	s_mov_b32 s41, s44
	s_mov_b32 s29, s16
	;; [unrolled: 1-line block ×26, first 2 shown]
	v_accvgpr_write_b32 a2, v144
	v_accvgpr_write_b32 a8, v145
	;; [unrolled: 1-line block ×4, first 2 shown]
	s_waitcnt vmcnt(7) lgkmcnt(3)
	v_mul_f32_e32 v28, v9, v21
	v_mul_f32_e32 v9, v9, v20
	v_fmac_f32_e32 v28, v8, v20
	v_fma_f32 v29, v8, v21, -v9
	v_accvgpr_read_b32 v8, a28              ;  Reload Reuse
	v_add_u32_e32 v8, 0xc00, v8
	ds_read2_b64 v[40:43], v8 offset0:126 offset1:228
	s_waitcnt lgkmcnt(3)
	v_mul_f32_e32 v30, v11, v23
	v_mul_f32_e32 v8, v11, v22
	v_fmac_f32_e32 v30, v10, v22
	v_fma_f32 v31, v10, v23, -v8
	s_waitcnt vmcnt(5)
	v_mov_b32_e32 v8, v5
	s_waitcnt lgkmcnt(2)
	v_pk_mul_f32 v[10:11], v[32:33], v[4:5] op_sel:[1,0] op_sel_hi:[0,1]
	v_pk_mul_f32 v[8:9], v[32:33], v[8:9] op_sel:[1,0] op_sel_hi:[0,1]
	v_mov_b32_e32 v10, v11
	v_pk_fma_f32 v[8:9], v[32:33], v[4:5], v[8:9]
	v_pk_fma_f32 v[26:27], v[32:33], v[4:5], v[10:11] op_sel:[1,0,0] op_sel_hi:[0,1,1] neg_lo:[0,0,1] neg_hi:[0,0,1]
	v_mov_b32_e32 v4, v7
	v_pk_mul_f32 v[4:5], v[34:35], v[4:5] op_sel_hi:[1,0]
	s_waitcnt lgkmcnt(0)
	v_pk_mul_f32 v[20:21], v[40:41], v[0:1]
	v_pk_fma_f32 v[32:33], v[34:35], v[6:7], v[4:5] op_sel:[0,0,1] op_sel_hi:[1,0,0]
	v_pk_fma_f32 v[34:35], v[34:35], v[6:7], v[4:5] op_sel:[0,0,1] op_sel_hi:[1,0,0] neg_lo:[0,0,1] neg_hi:[0,0,1]
	s_waitcnt vmcnt(4)
	v_pk_mul_f32 v[4:5], v[44:45], v[16:17] op_sel:[0,1]
	v_mov_b32_e32 v22, v41
	v_pk_fma_f32 v[38:39], v[44:45], v[16:17], v[4:5] op_sel:[0,0,1] op_sel_hi:[1,0,0]
	v_pk_fma_f32 v[76:77], v[44:45], v[16:17], v[4:5] op_sel:[0,0,1] op_sel_hi:[1,0,0] neg_lo:[0,0,1] neg_hi:[0,0,1]
	v_mov_b32_e32 v4, v19
	v_pk_mul_f32 v[4:5], v[46:47], v[4:5] op_sel_hi:[1,0]
	v_pk_mul_f32 v[44:45], v[42:43], v[2:3] op_sel:[1,0] op_sel_hi:[0,1]
	v_pk_fma_f32 v[82:83], v[46:47], v[18:19], v[4:5] op_sel:[0,0,1] op_sel_hi:[1,0,0]
	v_pk_fma_f32 v[18:19], v[46:47], v[18:19], v[4:5] op_sel:[0,0,1] op_sel_hi:[1,0,0] neg_lo:[0,0,1] neg_hi:[0,0,1]
	v_mov_b32_e32 v4, v1
	v_pk_mul_f32 v[24:25], v[40:41], v[4:5]
	v_mov_b32_e32 v4, v3
	v_pk_mul_f32 v[4:5], v[42:43], v[4:5] op_sel:[1,0] op_sel_hi:[0,1]
	v_pk_fma_f32 v[40:41], v[42:43], v[2:3], v[4:5]
	v_accvgpr_read_b32 v4, a28              ;  Reload Reuse
	v_add_u32_e32 v10, 0x2000, v4
	ds_read2_b64 v[4:7], v10 offset0:98 offset1:200
	v_pk_fma_f32 v[48:49], v[22:23], v[0:1], v[24:25] neg_lo:[0,0,1] neg_hi:[0,0,1]
	s_waitcnt vmcnt(3)
	v_mov_b32_e32 v0, v15
	v_mov_b32_e32 v44, v45
	v_accvgpr_write_b32 a6, v10
	s_waitcnt lgkmcnt(0)
	v_pk_mul_f32 v[22:23], v[6:7], v[0:1]
	v_pk_mul_f32 v[0:1], v[4:5], v[12:13] op_sel:[0,1]
	v_pk_fma_f32 v[10:11], v[42:43], v[2:3], v[44:45] op_sel:[1,0,0] op_sel_hi:[0,1,1] neg_lo:[0,0,1] neg_hi:[0,0,1]
	v_pk_fma_f32 v[44:45], v[4:5], v[12:13], v[0:1] op_sel:[0,0,1] op_sel_hi:[1,0,0]
	v_pk_fma_f32 v[46:47], v[4:5], v[12:13], v[0:1] op_sel:[0,0,1] op_sel_hi:[1,0,0] neg_lo:[0,0,1] neg_hi:[0,0,1]
	v_accvgpr_read_b32 v0, a28              ;  Reload Reuse
	v_add_u32_e32 v4, 0x2c00, v0
	ds_read2_b64 v[0:3], v4 offset0:122 offset1:224
	v_accvgpr_write_b32 a7, v4
	v_mov_b32_e32 v4, v7
	v_pk_fma_f32 v[124:125], v[4:5], v[14:15], v[22:23] neg_lo:[0,0,1] neg_hi:[0,0,1]
	s_waitcnt vmcnt(2)
	v_mov_b32_e32 v4, v51
	v_pk_mul_f32 v[24:25], v[6:7], v[14:15]
	s_waitcnt lgkmcnt(0)
	v_pk_mul_f32 v[4:5], v[0:1], v[4:5]
	v_mov_b32_e32 v6, v1
	v_pk_fma_f32 v[22:23], v[6:7], v[50:51], v[4:5] neg_lo:[0,0,1] neg_hi:[0,0,1]
	v_pk_mul_f32 v[4:5], v[0:1], v[50:51]
	v_pk_add_f32 v[142:143], v[26:27], v[18:19] op_sel:[0,1] neg_lo:[0,1] neg_hi:[0,1]
	v_mov_b32_e32 v4, v5
	v_pk_fma_f32 v[16:17], v[0:1], v[50:51], v[4:5]
	v_pk_mul_f32 v[0:1], v[2:3], v[52:53]
	ds_read2_b64 v[4:7], v145 offset0:50 offset1:152
	v_mov_b32_e32 v0, v1
	v_pk_fma_f32 v[14:15], v[2:3], v[52:53], v[0:1]
	v_mov_b32_e32 v0, v53
	v_pk_mul_f32 v[0:1], v[2:3], v[0:1]
	v_mov_b32_e32 v2, v3
	v_pk_fma_f32 v[62:63], v[2:3], v[52:53], v[0:1] neg_lo:[0,0,1] neg_hi:[0,0,1]
	v_accvgpr_read_b32 v0, a10
	ds_read2_b64 v[0:3], v0 offset0:46 offset1:148
	s_waitcnt lgkmcnt(1)
	v_mov_b32_e32 v50, v7
	s_waitcnt vmcnt(1)
	v_pk_mul_f32 v[64:65], v[6:7], v[56:57]
	v_mov_b32_e32 v7, v55
	v_mov_b32_e32 v52, v56
	;; [unrolled: 1-line block ×5, first 2 shown]
	v_mul_f32_e32 v67, v54, v4
	v_mul_f32_e32 v55, v55, v5
	v_mov_b32_e32 v53, v5
	v_pk_mul_f32 v[4:5], v[6:7], v[56:57]
	s_waitcnt vmcnt(0) lgkmcnt(0)
	v_pk_mul_f32 v[6:7], v[0:1], v[58:59]
	v_pk_fma_f32 v[52:53], v[50:51], v[52:53], v[4:5] neg_lo:[0,0,1] neg_hi:[0,0,1]
	v_mov_b32_e32 v4, v1
	v_mov_b32_e32 v5, v3
	;; [unrolled: 1-line block ×3, first 2 shown]
	v_pk_mul_f32 v[2:3], v[2:3], v[60:61]
	v_mov_b32_e32 v51, v60
	v_mov_b32_e32 v60, v59
	v_pk_mul_f32 v[0:1], v[0:1], v[60:61]
	v_mov_b32_e32 v50, v58
	v_pk_fma_f32 v[50:51], v[4:5], v[50:51], v[0:1] neg_lo:[0,0,1] neg_hi:[0,0,1]
	v_mov_b32_e32 v0, v20
	v_mov_b32_e32 v1, v24
	v_mov_b32_e32 v24, v21
	v_pk_add_f32 v[58:59], v[0:1], v[24:25]
	v_mov_b32_e32 v66, v64
	v_mov_b32_e32 v54, v65
	;; [unrolled: 1-line block ×5, first 2 shown]
	v_pk_add_f32 v[60:61], v[66:67], v[54:55]
	v_pk_add_f32 v[54:55], v[0:1], v[2:3]
	v_pk_add_f32 v[130:131], v[52:53], v[50:51] neg_lo:[0,1] neg_hi:[0,1]
	v_pk_add_f32 v[132:133], v[60:61], v[54:55]
	v_pk_mul_f32 v[2:3], v[130:131], s[40:41]
	v_pk_add_f32 v[80:81], v[60:61], v[54:55] neg_lo:[0,1] neg_hi:[0,1]
	v_pk_fma_f32 v[0:1], v[132:133], s[28:29], v[2:3]
	v_pk_add_f32 v[56:57], v[52:53], v[50:51]
	v_accvgpr_write_b32 a13, v1
	v_pk_mul_f32 v[4:5], v[80:81], s[40:41]
	v_accvgpr_write_b32 a12, v0
	v_pk_fma_f32 v[0:1], v[56:57], s[28:29], v[4:5]
	v_mov_b32_e32 v15, v62
	v_accvgpr_write_b32 a11, v1
	v_accvgpr_write_b32 a10, v0
	v_pk_fma_f32 v[0:1], v[56:57], s[28:29], v[4:5] neg_lo:[0,0,1] neg_hi:[0,0,1]
	v_mov_b32_e32 v17, v22
	v_accvgpr_write_b32 a15, v1
	v_accvgpr_write_b32 a14, v0
	v_accvgpr_read_b32 v0, a28              ;  Reload Reuse
	ds_read_b64 v[62:63], v0
	v_pk_add_f32 v[70:71], v[28:29], v[14:15] neg_lo:[0,1] neg_hi:[0,1]
	v_pk_add_f32 v[68:69], v[28:29], v[14:15]
	v_pk_mul_f32 v[20:21], v[70:71], s[12:13] op_sel:[1,0] op_sel_hi:[0,0]
	v_pk_add_f32 v[72:73], v[30:31], v[16:17] neg_lo:[0,1] neg_hi:[0,1]
	v_pk_fma_f32 v[36:37], v[132:133], s[28:29], v[2:3] neg_lo:[0,0,1] neg_hi:[0,0,1]
	s_mov_b32 s29, s46
	v_pk_fma_f32 v[0:1], v[68:69], s[8:9], v[20:21] op_sel_hi:[1,0,1]
	v_pk_fma_f32 v[74:75], v[68:69], s[8:9], v[20:21] op_sel_hi:[1,0,1] neg_lo:[0,0,1] neg_hi:[0,0,1]
	v_pk_add_f32 v[64:65], v[30:31], v[16:17]
	v_pk_mul_f32 v[22:23], v[72:73], s[40:41] op_sel:[1,0] op_sel_hi:[0,0]
	v_mov_b32_e32 v20, v0
	v_accvgpr_write_b32 a19, v1
	v_mov_b32_e32 v21, v75
	v_pk_fma_f32 v[0:1], v[64:65], s[28:29], v[22:23] op_sel_hi:[1,0,1]
	v_pk_fma_f32 v[78:79], v[64:65], s[28:29], v[22:23] op_sel_hi:[1,0,1] neg_lo:[0,0,1] neg_hi:[0,0,1]
	s_waitcnt lgkmcnt(0)
	v_pk_add_f32 v[20:21], v[20:21], v[62:63]
	v_mov_b32_e32 v22, v0
	v_mov_b32_e32 v23, v79
	v_pk_mul_f32 v[134:135], v[130:131], s[10:11]
	v_pk_mul_f32 v[136:137], v[56:57], s[20:21]
	v_pk_add_f32 v[20:21], v[22:23], v[20:21]
	v_pk_fma_f32 v[22:23], v[132:133], s[20:21], v[134:135]
	v_pk_fma_f32 v[24:25], v[80:81], s[10:11], v[136:137] neg_lo:[1,0,0] neg_hi:[1,0,0]
	v_mov_b32_e32 v66, v23
	v_mov_b32_e32 v67, v25
	v_pk_add_f32 v[20:21], v[66:67], v[20:21]
	v_mov_b32_e32 v23, v24
	v_pk_add_f32 v[138:139], v[22:23], v[20:21]
	v_pk_mul_f32 v[20:21], v[56:57], s[2:3]
	v_accvgpr_write_b32 a21, v1
	v_pk_fma_f32 v[0:1], v[80:81], s[24:25], v[20:21]
	v_pk_add_f32 v[66:67], v[32:33], v[38:39] neg_lo:[0,1] neg_hi:[0,1]
	v_accvgpr_write_b32 a27, v1
	v_accvgpr_write_b32 a26, v0
	v_mov_b64_e32 v[0:1], v[34:35]
	v_pk_add_f32 v[154:155], v[0:1], v[76:77] neg_lo:[0,1] neg_hi:[0,1]
	v_pk_add_f32 v[34:35], v[8:9], v[82:83] neg_lo:[0,1] neg_hi:[0,1]
	v_pk_add_f32 v[110:111], v[26:27], v[18:19] op_sel_hi:[0,1]
	v_pk_add_f32 v[106:107], v[0:1], v[76:77]
	v_pk_fma_f32 v[170:171], v[80:81], s[24:25], v[20:21] neg_lo:[1,0,0] neg_hi:[1,0,0]
	v_pk_add_f32 v[112:113], v[8:9], v[82:83]
	v_pk_add_f32 v[20:21], v[32:33], v[38:39]
	v_mov_b32_e32 v148, v155
	v_mov_b32_e32 v149, v142
	v_pk_mul_f32 v[146:147], v[130:131], s[24:25]
	s_mov_b32 s25, s42
	v_mov_b32_e32 v96, v66
	v_mov_b32_e32 v97, v34
	;; [unrolled: 1-line block ×6, first 2 shown]
	v_accvgpr_write_b32 a18, v32
	v_pk_mul_f32 v[22:23], v[148:149], s[24:25]
	v_pk_mul_f32 v[24:25], v[96:97], s[24:25]
	;; [unrolled: 1-line block ×3, first 2 shown]
	v_pk_fma_f32 v[150:151], v[140:141], s[54:55], v[22:23]
	v_pk_fma_f32 v[84:85], v[140:141], s[54:55], v[22:23] neg_lo:[0,0,1] neg_hi:[0,0,1]
	v_mov_b32_e32 v23, v24
	v_mov_b32_e32 v9, v32
	v_pk_add_f32 v[22:23], v[8:9], v[22:23] neg_lo:[0,1] neg_hi:[0,1]
	v_pk_fma_f32 v[152:153], v[96:97], s[24:25], v[32:33] neg_lo:[1,0,0] neg_hi:[1,0,0]
	s_mov_b32 s54, s14
	s_mov_b32 s55, s28
	v_mov_b32_e32 v152, v151
	v_mov_b32_e32 v151, v23
	v_pk_mul_f32 v[22:23], v[148:149], s[38:39]
	v_pk_mul_f32 v[90:91], v[96:97], s[38:39]
	;; [unrolled: 1-line block ×3, first 2 shown]
	v_pk_fma_f32 v[24:25], v[140:141], s[54:55], v[22:23]
	v_pk_fma_f32 v[88:89], v[140:141], s[54:55], v[22:23] neg_lo:[0,0,1] neg_hi:[0,0,1]
	v_mov_b32_e32 v23, v90
	v_mov_b32_e32 v9, v174
	v_pk_add_f32 v[158:159], v[8:9], v[22:23] neg_lo:[0,1] neg_hi:[0,1]
	v_pk_mul_f32 v[22:23], v[70:71], s[44:45] op_sel:[1,0] op_sel_hi:[0,0]
	v_mov_b32_e32 v35, v1
	v_pk_fma_f32 v[0:1], v[68:69], s[16:17], v[22:23] op_sel_hi:[1,0,1]
	v_pk_fma_f32 v[90:91], v[68:69], s[16:17], v[22:23] op_sel_hi:[1,0,1] neg_lo:[0,0,1] neg_hi:[0,0,1]
	v_pk_mul_f32 v[94:95], v[72:73], s[36:37] op_sel:[1,0] op_sel_hi:[0,0]
	v_mov_b32_e32 v22, v0
	v_mov_b32_e32 v23, v91
	v_pk_fma_f32 v[42:43], v[64:65], s[26:27], v[94:95] op_sel_hi:[1,0,1]
	v_pk_fma_f32 v[94:95], v[64:65], s[26:27], v[94:95] op_sel_hi:[1,0,1] neg_lo:[0,0,1] neg_hi:[0,0,1]
	v_pk_add_f32 v[22:23], v[22:23], v[62:63]
	v_mov_b32_e32 v102, v42
	v_mov_b32_e32 v103, v95
	v_pk_add_f32 v[22:23], v[102:103], v[22:23]
	v_pk_mul_f32 v[102:103], v[130:131], s[18:19]
	v_pk_mul_f32 v[114:115], v[56:57], s[22:23]
	v_pk_fma_f32 v[104:105], v[132:133], s[22:23], v[102:103]
	v_pk_fma_f32 v[116:117], v[80:81], s[18:19], v[114:115] neg_lo:[1,0,0] neg_hi:[1,0,0]
	v_mov_b32_e32 v118, v105
	v_mov_b32_e32 v119, v117
	v_pk_add_f32 v[22:23], v[118:119], v[22:23]
	v_mov_b32_e32 v105, v116
	v_pk_fma_f32 v[164:165], v[96:97], s[38:39], v[174:175] neg_lo:[1,0,0] neg_hi:[1,0,0]
	v_pk_add_f32 v[22:23], v[104:105], v[22:23]
	v_mov_b32_e32 v158, v24
	v_mov_b32_e32 v164, v25
	v_pk_fma_f32 v[104:105], v[80:81], s[18:19], v[114:115]
	v_pk_add_f32 v[122:123], v[40:41], v[44:45]
	v_pk_add_f32 v[114:115], v[40:41], v[44:45] neg_lo:[0,1] neg_hi:[0,1]
	v_pk_mul_f32 v[24:25], v[70:71], s[34:35] op_sel:[1,0] op_sel_hi:[0,0]
	v_mov_b32_e32 v116, v59
	v_mov_b32_e32 v117, v124
	;; [unrolled: 1-line block ×4, first 2 shown]
	v_pk_fma_f32 v[40:41], v[68:69], s[22:23], v[24:25] op_sel_hi:[1,0,1]
	v_pk_fma_f32 v[118:119], v[68:69], s[22:23], v[24:25] op_sel_hi:[1,0,1] neg_lo:[0,0,1] neg_hi:[0,0,1]
	v_mov_b32_e32 v24, v58
	v_mov_b32_e32 v25, v48
	;; [unrolled: 1-line block ×4, first 2 shown]
	v_pk_add_f32 v[160:161], v[24:25], v[116:117]
	v_pk_add_f32 v[166:167], v[48:49], v[124:125] neg_lo:[0,1] neg_hi:[0,1]
	v_pk_add_f32 v[168:169], v[10:11], v[46:47] op_sel:[0,1] op_sel_hi:[0,1]
	v_pk_add_f32 v[192:193], v[10:11], v[46:47] op_sel:[0,1] neg_lo:[0,1] neg_hi:[0,1]
	v_pk_mul_f32 v[24:25], v[122:123], s[28:29]
	v_pk_fma_f32 v[102:103], v[132:133], s[22:23], v[102:103] neg_lo:[0,0,1] neg_hi:[0,0,1]
	v_mov_b32_e32 v194, v169
	v_mov_b32_e32 v195, v161
	v_pk_fma_f32 v[124:125], v[192:193], s[46:47], v[24:25] neg_lo:[1,0,0] neg_hi:[1,0,0]
	v_mov_b32_e32 v193, v166
	s_mov_b32 s23, s14
	s_mov_b32 s19, s50
	v_accvgpr_write_b32 a20, v38
	v_mov_b32_e32 v115, v167
	v_mov_b32_e32 v126, v122
	;; [unrolled: 1-line block ×3, first 2 shown]
	v_pk_mul_f32 v[198:199], v[192:193], s[18:19]
	v_pk_mul_f32 v[38:39], v[194:195], s[22:23]
	v_pk_fma_f32 v[172:173], v[126:127], s[22:23], v[198:199]
	v_pk_fma_f32 v[176:177], v[114:115], s[18:19], v[38:39] neg_lo:[1,0,0] neg_hi:[1,0,0]
	v_mov_b32_e32 v178, v173
	v_mov_b32_e32 v179, v177
	v_pk_add_f32 v[138:139], v[178:179], v[138:139]
	v_mov_b32_e32 v173, v176
	v_pk_add_f32 v[138:139], v[172:173], v[138:139]
	v_pk_fma_f32 v[176:177], v[132:133], s[2:3], v[146:147]
	v_pk_add_f32 v[138:139], v[152:153], v[138:139]
	v_mov_b32_e32 v113, v34
	v_pk_add_f32 v[172:173], v[150:151], v[138:139]
	v_pk_fma_f32 v[138:139], v[132:133], s[2:3], v[146:147] neg_lo:[0,0,1] neg_hi:[0,0,1]
	s_mov_b32 s3, s6
	v_mov_b32_e32 v110, v142
	v_pk_mul_f32 v[146:147], v[112:113], s[2:3]
	v_mov_b32_e32 v205, v56
	v_mov_b32_e32 v56, v131
	v_pk_fma_f32 v[142:143], v[142:143], s[6:7], v[146:147] neg_lo:[1,0,0] neg_hi:[1,0,0]
	v_pk_fma_f32 v[206:207], v[110:111], s[6:7], v[146:147]
	v_pk_fma_f32 v[180:181], v[110:111], s[6:7], v[146:147] neg_lo:[0,0,1] neg_hi:[0,0,1]
	v_pk_mul_f32 v[178:179], v[56:57], s[6:7]
	s_mov_b32 s7, s30
	v_pk_mul_f32 v[152:153], v[192:193], s[6:7]
	v_pk_mul_f32 v[150:151], v[194:195], s[52:53]
	v_pk_fma_f32 v[146:147], v[126:127], s[52:53], v[152:153]
	v_pk_fma_f32 v[182:183], v[114:115], s[6:7], v[150:151] neg_lo:[1,0,0] neg_hi:[1,0,0]
	v_mov_b32_e32 v184, v147
	v_mov_b32_e32 v185, v183
	v_pk_add_f32 v[22:23], v[184:185], v[22:23]
	v_mov_b32_e32 v147, v182
	v_pk_add_f32 v[22:23], v[146:147], v[22:23]
	v_mov_b32_e32 v0, 3
	v_mov_b32_e32 v79, v1
	v_pk_add_f32 v[22:23], v[164:165], v[22:23]
	v_lshlrev_b32_sdwa v0, v0, v163 dst_sel:DWORD dst_unused:UNUSED_PAD src0_sel:DWORD src1_sel:BYTE_0
	v_mul_u32_u24_e32 v1, 0x908, v162
	v_pk_add_f32 v[22:23], v[158:159], v[22:23]
	v_add3_u32 v9, 0, v1, v0
	s_barrier
	ds_write2_b64 v9, v[172:173], v[22:23] offset0:34 offset1:51
	v_pk_mul_f32 v[22:23], v[148:149], s[30:31]
	v_pk_mul_f32 v[158:159], v[96:97], s[30:31]
	;; [unrolled: 1-line block ×3, first 2 shown]
	v_pk_mul_f32 v[156:157], v[70:71], s[40:41] op_sel:[1,0] op_sel_hi:[0,0]
	v_pk_fma_f32 v[172:173], v[140:141], s[8:9], v[22:23]
	v_pk_fma_f32 v[146:147], v[140:141], s[8:9], v[22:23] neg_lo:[0,0,1] neg_hi:[0,0,1]
	v_mov_b32_e32 v23, v158
	v_pk_fma_f32 v[158:159], v[68:69], s[28:29], v[156:157] op_sel_hi:[1,0,1]
	v_pk_fma_f32 v[156:157], v[68:69], s[28:29], v[156:157] op_sel_hi:[1,0,1] neg_lo:[0,0,1] neg_hi:[0,0,1]
	v_pk_fma_f32 v[136:137], v[80:81], s[10:11], v[136:137]
	s_mov_b32 s11, s20
	v_mov_b32_e32 v162, v158
	v_mov_b32_e32 v163, v157
	v_pk_fma_f32 v[134:135], v[132:133], s[20:21], v[134:135] neg_lo:[0,0,1] neg_hi:[0,0,1]
	s_mov_b32 s21, s14
	v_pk_add_f32 v[182:183], v[162:163], v[62:63]
	v_pk_mul_f32 v[162:163], v[72:73], s[10:11] op_sel:[1,0] op_sel_hi:[0,0]
	v_pk_fma_f32 v[164:165], v[64:65], s[20:21], v[162:163] op_sel_hi:[1,0,1]
	v_pk_fma_f32 v[162:163], v[64:65], s[20:21], v[162:163] op_sel_hi:[1,0,1] neg_lo:[0,0,1] neg_hi:[0,0,1]
	v_mov_b32_e32 v11, v184
	v_mov_b32_e32 v186, v164
	;; [unrolled: 1-line block ×6, first 2 shown]
	v_pk_add_f32 v[22:23], v[10:11], v[22:23] neg_lo:[0,1] neg_hi:[0,1]
	v_pk_add_f32 v[182:183], v[186:187], v[182:183]
	v_mov_b32_e32 v186, v177
	v_mov_b32_e32 v187, v171
	v_pk_fma_f32 v[208:209], v[96:97], s[30:31], v[184:185] neg_lo:[1,0,0] neg_hi:[1,0,0]
	v_mov_b32_e32 v80, v133
	v_mov_b32_e32 v204, v130
	v_pk_mul_f32 v[132:133], v[200:201], s[16:17]
	v_pk_fma_f32 v[210:211], v[168:169], s[46:47], v[24:25]
	v_pk_fma_f32 v[24:25], v[168:169], s[46:47], v[24:25] neg_lo:[0,0,1] neg_hi:[0,0,1]
	v_mov_b32_e32 v202, v20
	v_mov_b32_e32 v203, v66
	v_pk_add_f32 v[182:183], v[186:187], v[182:183]
	v_mov_b32_e32 v177, v170
	v_mov_b32_e32 v22, v172
	v_mov_b32_e32 v208, v173
	v_pk_fma_f32 v[172:173], v[130:131], s[44:45], v[132:133] neg_lo:[1,0,0] neg_hi:[1,0,0]
	v_pk_fma_f32 v[130:131], v[204:205], s[44:45], v[132:133]
	v_pk_fma_f32 v[132:133], v[204:205], s[44:45], v[132:133] neg_lo:[0,0,1] neg_hi:[0,0,1]
	v_mov_b32_e32 v125, v211
	v_mov_b32_e32 v211, v25
	;; [unrolled: 1-line block ×3, first 2 shown]
	v_pk_mul_f32 v[24:25], v[202:203], s[26:27]
	v_pk_add_f32 v[196:197], v[176:177], v[182:183]
	v_mov_b32_e32 v173, v131
	v_mov_b32_e32 v131, v133
	v_pk_fma_f32 v[176:177], v[154:155], s[36:37], v[24:25] op_sel:[1,0,0] neg_lo:[1,0,0] neg_hi:[1,0,0]
	v_pk_fma_f32 v[154:155], v[106:107], s[36:37], v[24:25]
	v_pk_fma_f32 v[24:25], v[106:107], s[36:37], v[24:25] neg_lo:[0,0,1] neg_hi:[0,0,1]
	v_pk_mul_f32 v[132:133], v[72:73], s[50:51] op_sel:[1,0] op_sel_hi:[0,0]
	v_mov_b32_e32 v143, v207
	v_mov_b32_e32 v207, v181
	;; [unrolled: 1-line block ×6, first 2 shown]
	v_pk_fma_f32 v[182:183], v[64:65], s[14:15], v[132:133] op_sel_hi:[1,0,1]
	v_pk_fma_f32 v[180:181], v[64:65], s[14:15], v[132:133] op_sel_hi:[1,0,1] neg_lo:[0,0,1] neg_hi:[0,0,1]
	s_mov_b32 s9, s30
	v_pk_add_f32 v[24:25], v[24:25], v[62:63]
	v_mov_b32_e32 v132, v182
	v_mov_b32_e32 v133, v181
	v_pk_fma_f32 v[170:171], v[96:97], s[30:31], v[184:185]
	s_mov_b32 s31, s8
	v_pk_mul_f32 v[184:185], v[80:81], s[8:9]
	v_pk_add_f32 v[24:25], v[132:133], v[24:25]
	v_pk_fma_f32 v[186:187], v[56:57], s[30:31], v[184:185]
	v_pk_fma_f32 v[132:133], v[56:57], s[30:31], v[184:185] neg_lo:[0,0,1] neg_hi:[0,0,1]
	s_mov_b32 s55, s16
	v_mov_b32_e32 v132, v186
	s_mov_b32 s50, s38
	s_mov_b32 s51, s44
	v_pk_add_f32 v[24:25], v[132:133], v[24:25]
	v_pk_mul_f32 v[190:191], v[192:193], s[50:51]
	v_pk_mul_f32 v[188:189], v[194:195], s[54:55]
	v_pk_add_f32 v[24:25], v[130:131], v[24:25]
	v_pk_fma_f32 v[130:131], v[126:127], s[54:55], v[190:191]
	v_pk_fma_f32 v[132:133], v[114:115], s[50:51], v[188:189] neg_lo:[1,0,0] neg_hi:[1,0,0]
	v_mov_b32_e32 v212, v131
	v_mov_b32_e32 v213, v133
	v_pk_add_f32 v[196:197], v[212:213], v[196:197]
	v_mov_b32_e32 v131, v132
	v_pk_add_f32 v[130:131], v[130:131], v[196:197]
	s_mov_b32 s44, s10
	s_mov_b32 s45, s38
	v_pk_add_f32 v[130:131], v[208:209], v[130:131]
	v_pk_mul_f32 v[132:133], v[148:149], s[44:45]
	v_pk_add_f32 v[22:23], v[22:23], v[130:131]
	v_pk_mul_f32 v[130:131], v[20:21], s[20:21]
	v_pk_fma_f32 v[20:21], v[140:141], s[20:21], v[132:133]
	v_pk_fma_f32 v[140:141], v[140:141], s[20:21], v[132:133] neg_lo:[0,0,1] neg_hi:[0,0,1]
	v_mov_b32_e32 v196, v160
	v_mov_b32_e32 v197, v167
	s_mov_b32 s21, s10
	v_mov_b32_e32 v148, v166
	v_mov_b32_e32 v149, v161
	v_pk_mul_f32 v[196:197], v[196:197], s[20:21]
	s_mov_b32 s37, s34
	v_pk_fma_f32 v[208:209], v[148:149], s[10:11], v[196:197]
	v_pk_fma_f32 v[148:149], v[148:149], s[10:11], v[196:197] neg_lo:[0,0,1] neg_hi:[0,0,1]
	v_pk_fma_f32 v[196:197], v[166:167], s[10:11], v[196:197] neg_lo:[1,0,0] neg_hi:[1,0,0]
	s_mov_b32 s27, s22
	v_mov_b32_e32 v197, v209
	v_mov_b32_e32 v209, v149
	v_pk_add_f32 v[24:25], v[208:209], v[24:25]
	v_pk_fma_f32 v[220:221], v[80:81], s[2:3], v[178:179]
	v_pk_add_f32 v[24:25], v[210:211], v[24:25]
	v_pk_fma_f32 v[174:175], v[96:97], s[38:39], v[174:175]
	v_pk_add_f32 v[24:25], v[206:207], v[24:25]
	s_mov_b32 s39, s14
	v_pk_add_f32 v[24:25], v[154:155], v[24:25]
	ds_write2_b64 v9, v[22:23], v[24:25] offset0:68 offset1:85
	v_pk_mul_f32 v[22:23], v[114:115], s[36:37]
	v_pk_mul_f32 v[24:25], v[72:73], s[18:19] op_sel:[1,0] op_sel_hi:[0,0]
	v_pk_fma_f32 v[148:149], v[194:195], s[26:27], v[22:23]
	v_pk_fma_f32 v[154:155], v[194:195], s[26:27], v[22:23] neg_lo:[0,0,1] neg_hi:[0,0,1]
	v_pk_mul_f32 v[22:23], v[70:71], s[36:37] op_sel:[1,0] op_sel_hi:[0,0]
	v_pk_fma_f32 v[208:209], v[68:69], s[26:27], v[22:23] op_sel_hi:[1,0,1]
	v_pk_fma_f32 v[206:207], v[68:69], s[26:27], v[22:23] op_sel_hi:[1,0,1] neg_lo:[0,0,1] neg_hi:[0,0,1]
	v_mov_b32_e32 v22, v208
	v_mov_b32_e32 v23, v207
	v_pk_fma_f32 v[212:213], v[64:65], s[22:23], v[24:25] op_sel_hi:[1,0,1]
	v_pk_fma_f32 v[210:211], v[64:65], s[22:23], v[24:25] op_sel_hi:[1,0,1] neg_lo:[0,0,1] neg_hi:[0,0,1]
	v_pk_add_f32 v[22:23], v[22:23], v[62:63]
	v_mov_b32_e32 v24, v212
	v_mov_b32_e32 v25, v211
	v_pk_add_f32 v[22:23], v[24:25], v[22:23]
	v_pk_fma_f32 v[24:25], v[80:81], s[2:3], v[178:179] neg_lo:[1,0,0] neg_hi:[1,0,0]
	v_mov_b32_e32 v75, v19
	v_mov_b32_e32 v24, v220
	v_pk_add_f32 v[22:23], v[24:25], v[22:23]
	v_pk_mul_f32 v[24:25], v[204:205], s[38:39]
	s_mov_b32 s13, s8
	v_pk_fma_f32 v[224:225], v[200:201], s[14:15], v[24:25]
	v_pk_fma_f32 v[194:195], v[200:201], s[14:15], v[24:25] neg_lo:[1,0,0] neg_hi:[1,0,0]
	s_mov_b32 s44, s8
	v_mov_b32_e32 v194, v224
	v_pk_add_f32 v[22:23], v[194:195], v[22:23]
	v_pk_mul_f32 v[194:195], v[166:167], s[46:47] op_sel_hi:[1,0]
	s_mov_b32 s45, s12
	v_pk_fma_f32 v[18:19], v[160:161], s[28:29], v[194:195] op_sel_hi:[1,0,1]
	v_pk_fma_f32 v[214:215], v[160:161], s[28:29], v[194:195] op_sel_hi:[1,0,1] neg_lo:[0,0,1] neg_hi:[0,0,1]
	v_mov_b32_e32 v194, v18
	v_mov_b32_e32 v195, v215
	v_pk_mul_f32 v[228:229], v[168:169], s[12:13]
	v_pk_add_f32 v[22:23], v[194:195], v[22:23]
	v_pk_fma_f32 v[12:13], v[122:123], s[44:45], v[228:229]
	v_pk_fma_f32 v[194:195], v[122:123], s[44:45], v[228:229] neg_lo:[1,0,0] neg_hi:[1,0,0]
	v_pk_mul_f32 v[232:233], v[110:111], s[10:11]
	v_mov_b32_e32 v194, v12
	v_accvgpr_write_b32 a24, v10
	v_pk_add_f32 v[22:23], v[194:195], v[22:23]
	v_pk_fma_f32 v[10:11], v[112:113], s[20:21], v[232:233]
	v_pk_fma_f32 v[194:195], v[112:113], s[20:21], v[232:233] neg_lo:[1,0,0] neg_hi:[1,0,0]
	s_mov_b32 s17, s42
	v_mov_b32_e32 v194, v10
	v_pk_mul_f32 v[236:237], v[106:107], s[42:43]
	v_pk_add_f32 v[22:23], v[194:195], v[22:23]
	v_pk_fma_f32 v[6:7], v[202:203], s[16:17], v[236:237]
	v_pk_fma_f32 v[194:195], v[202:203], s[16:17], v[236:237] neg_lo:[1,0,0] neg_hi:[1,0,0]
	v_pk_mul_f32 v[244:245], v[72:73], s[42:43] op_sel:[1,0] op_sel_hi:[0,0]
	v_mov_b32_e32 v194, v6
	v_pk_add_f32 v[22:23], v[194:195], v[22:23]
	v_pk_mul_f32 v[194:195], v[70:71], s[38:39] op_sel:[1,0] op_sel_hi:[0,0]
	v_pk_fma_f32 v[240:241], v[68:69], s[14:15], v[194:195] op_sel_hi:[1,0,1]
	v_pk_fma_f32 v[242:243], v[68:69], s[14:15], v[194:195] op_sel_hi:[1,0,1] neg_lo:[0,0,1] neg_hi:[0,0,1]
	v_mov_b32_e32 v194, v240
	v_mov_b32_e32 v195, v243
	v_pk_fma_f32 v[246:247], v[64:65], s[16:17], v[244:245] op_sel_hi:[1,0,1]
	v_pk_fma_f32 v[244:245], v[64:65], s[16:17], v[244:245] op_sel_hi:[1,0,1] neg_lo:[0,0,1] neg_hi:[0,0,1]
	v_pk_add_f32 v[194:195], v[194:195], v[62:63]
	v_mov_b32_e32 v248, v246
	v_mov_b32_e32 v249, v245
	s_mov_b32 s41, s28
	v_pk_add_f32 v[194:195], v[248:249], v[194:195]
	v_pk_mul_f32 v[248:249], v[56:57], s[40:41]
	v_pk_mul_f32 v[254:255], v[204:205], s[48:49]
	v_pk_fma_f32 v[250:251], v[80:81], s[56:57], v[248:249]
	v_pk_fma_f32 v[252:253], v[80:81], s[56:57], v[248:249] neg_lo:[1,0,0] neg_hi:[1,0,0]
	v_accvgpr_write_b32 a16, v26
	v_mov_b32_e32 v252, v250
	v_pk_add_f32 v[252:253], v[252:253], v[194:195]
	v_pk_mul_f32 v[194:195], v[192:193], s[36:37]
	s_mov_b32 s35, s22
	v_pk_fma_f32 v[192:193], v[126:127], s[26:27], v[194:195] neg_lo:[0,0,1] neg_hi:[0,0,1]
	v_pk_fma_f32 v[194:195], v[126:127], s[26:27], v[194:195]
	s_mov_b32 s27, s48
	v_pk_fma_f32 v[0:1], v[200:201], s[26:27], v[254:255]
	v_pk_fma_f32 v[218:219], v[200:201], s[26:27], v[254:255] neg_lo:[1,0,0] neg_hi:[1,0,0]
	v_pk_fma_f32 v[198:199], v[126:127], s[22:23], v[198:199] neg_lo:[0,0,1] neg_hi:[0,0,1]
	v_mov_b32_e32 v218, v0
	v_pk_add_f32 v[218:219], v[218:219], v[252:253]
	v_pk_mul_f32 v[252:253], v[166:167], s[6:7] op_sel_hi:[1,0]
	s_mov_b32 s23, s34
	v_pk_fma_f32 v[4:5], v[160:161], s[2:3], v[252:253] op_sel_hi:[1,0,1]
	v_pk_fma_f32 v[252:253], v[160:161], s[2:3], v[252:253] op_sel_hi:[1,0,1] neg_lo:[0,0,1] neg_hi:[0,0,1]
	v_mov_b32_e32 v2, v4
	v_mov_b32_e32 v3, v253
	v_pk_add_f32 v[2:3], v[2:3], v[218:219]
	v_pk_mul_f32 v[218:219], v[168:169], s[10:11]
	v_pk_mul_f32 v[234:235], v[72:73], s[24:25] op_sel:[1,0] op_sel_hi:[0,0]
	v_pk_fma_f32 v[26:27], v[122:123], s[20:21], v[218:219]
	v_pk_fma_f32 v[144:145], v[122:123], s[20:21], v[218:219] neg_lo:[1,0,0] neg_hi:[1,0,0]
	v_pk_fma_f32 v[92:93], v[64:65], s[2:3], v[234:235] op_sel_hi:[1,0,1]
	v_mov_b32_e32 v144, v26
	v_pk_add_f32 v[2:3], v[144:145], v[2:3]
	v_pk_mul_f32 v[144:145], v[110:111], s[30:31]
	v_pk_fma_f32 v[234:235], v[64:65], s[2:3], v[234:235] op_sel_hi:[1,0,1] neg_lo:[0,0,1] neg_hi:[0,0,1]
	v_pk_fma_f32 v[222:223], v[112:113], s[8:9], v[144:145]
	v_pk_fma_f32 v[216:217], v[112:113], s[8:9], v[144:145] neg_lo:[1,0,0] neg_hi:[1,0,0]
	v_mov_b32_e32 v238, v92
	v_mov_b32_e32 v216, v222
	v_pk_add_f32 v[2:3], v[216:217], v[2:3]
	v_pk_mul_f32 v[216:217], v[106:107], s[34:35]
	v_mov_b32_e32 v239, v235
	v_pk_fma_f32 v[230:231], v[202:203], s[22:23], v[216:217]
	v_pk_fma_f32 v[226:227], v[202:203], s[22:23], v[216:217] neg_lo:[1,0,0] neg_hi:[1,0,0]
	v_accvgpr_write_b32 a22, v82
	v_mov_b32_e32 v226, v230
	v_pk_add_f32 v[2:3], v[226:227], v[2:3]
	ds_write2_b64 v9, v[22:23], v[2:3] offset0:102 offset1:119
	v_pk_mul_f32 v[2:3], v[70:71], s[10:11] op_sel:[1,0] op_sel_hi:[0,0]
	v_pk_fma_f32 v[22:23], v[68:69], s[20:21], v[2:3] op_sel_hi:[1,0,1]
	v_pk_fma_f32 v[2:3], v[68:69], s[20:21], v[2:3] op_sel_hi:[1,0,1] neg_lo:[0,0,1] neg_hi:[0,0,1]
	v_mov_b32_e32 v226, v22
	v_mov_b32_e32 v227, v3
	v_pk_add_f32 v[226:227], v[226:227], v[62:63]
	v_pk_mul_f32 v[204:205], v[204:205], s[30:31]
	v_pk_add_f32 v[226:227], v[238:239], v[226:227]
	v_pk_mul_f32 v[238:239], v[56:57], s[38:39]
	v_pk_fma_f32 v[86:87], v[200:201], s[8:9], v[204:205]
	v_pk_fma_f32 v[82:83], v[80:81], s[14:15], v[238:239]
	v_pk_fma_f32 v[98:99], v[80:81], s[14:15], v[238:239] neg_lo:[1,0,0] neg_hi:[1,0,0]
	v_pk_mul_f32 v[166:167], v[166:167], s[36:37] op_sel_hi:[1,0]
	v_mov_b32_e32 v98, v82
	v_pk_add_f32 v[98:99], v[98:99], v[226:227]
	v_pk_fma_f32 v[226:227], v[200:201], s[8:9], v[204:205] neg_lo:[1,0,0] neg_hi:[1,0,0]
	v_mov_b32_e32 v67, v77
	v_mov_b32_e32 v226, v86
	v_pk_add_f32 v[98:99], v[226:227], v[98:99]
	v_pk_fma_f32 v[226:227], v[160:161], s[26:27], v[166:167] op_sel_hi:[1,0,1]
	v_pk_fma_f32 v[160:161], v[160:161], s[26:27], v[166:167] op_sel_hi:[1,0,1] neg_lo:[0,0,1] neg_hi:[0,0,1]
	v_mov_b32_e32 v166, v226
	v_mov_b32_e32 v167, v161
	v_pk_add_f32 v[98:99], v[166:167], v[98:99]
	v_pk_mul_f32 v[166:167], v[168:169], s[42:43]
	v_mov_b32_e32 v3, v23
	v_pk_fma_f32 v[76:77], v[122:123], s[16:17], v[166:167]
	v_pk_fma_f32 v[168:169], v[122:123], s[16:17], v[166:167] neg_lo:[1,0,0] neg_hi:[1,0,0]
	v_mov_b32_e32 v235, v93
	v_mov_b32_e32 v168, v76
	v_pk_add_f32 v[98:99], v[168:169], v[98:99]
	v_pk_mul_f32 v[168:169], v[110:111], s[34:35]
	v_pk_add_f32 v[2:3], v[2:3], v[62:63]
	v_pk_fma_f32 v[128:129], v[112:113], s[22:23], v[168:169]
	v_pk_fma_f32 v[120:121], v[112:113], s[22:23], v[168:169] neg_lo:[1,0,0] neg_hi:[1,0,0]
	v_pk_add_f32 v[2:3], v[234:235], v[2:3]
	v_mov_b32_e32 v120, v128
	v_pk_add_f32 v[98:99], v[120:121], v[98:99]
	v_pk_mul_f32 v[120:121], v[106:107], s[46:47]
	v_mov_b32_e32 v161, v227
	v_pk_fma_f32 v[108:109], v[202:203], s[28:29], v[120:121]
	v_pk_fma_f32 v[100:101], v[202:203], s[28:29], v[120:121] neg_lo:[1,0,0] neg_hi:[1,0,0]
	v_pk_fma_f32 v[120:121], v[202:203], s[28:29], v[120:121] neg_lo:[0,0,1] neg_hi:[0,0,1]
	v_mov_b32_e32 v100, v108
	v_pk_add_f32 v[98:99], v[100:101], v[98:99]
	v_pk_fma_f32 v[100:101], v[80:81], s[14:15], v[238:239] neg_lo:[0,0,1] neg_hi:[0,0,1]
	v_mov_b32_e32 v121, v109
	v_mov_b32_e32 v101, v83
	v_pk_fma_f32 v[82:83], v[200:201], s[8:9], v[204:205] neg_lo:[0,0,1] neg_hi:[0,0,1]
	v_pk_add_f32 v[2:3], v[100:101], v[2:3]
	v_mov_b32_e32 v83, v87
	v_pk_fma_f32 v[86:87], v[122:123], s[16:17], v[166:167] neg_lo:[0,0,1] neg_hi:[0,0,1]
	v_pk_add_f32 v[2:3], v[82:83], v[2:3]
	;; [unrolled: 3-line block ×3, first 2 shown]
	v_mov_b32_e32 v77, v129
	v_pk_add_f32 v[2:3], v[86:87], v[2:3]
	v_mov_b32_e32 v243, v241
	v_pk_add_f32 v[2:3], v[76:77], v[2:3]
	v_mov_b32_e32 v245, v247
	v_pk_add_f32 v[2:3], v[120:121], v[2:3]
	ds_write2_b64 v9, v[98:99], v[2:3] offset0:136 offset1:153
	v_pk_fma_f32 v[2:3], v[80:81], s[56:57], v[248:249] neg_lo:[0,0,1] neg_hi:[0,0,1]
	v_pk_add_f32 v[82:83], v[242:243], v[62:63]
	v_mov_b32_e32 v3, v251
	v_pk_fma_f32 v[22:23], v[200:201], s[26:27], v[254:255] neg_lo:[0,0,1] neg_hi:[0,0,1]
	v_pk_add_f32 v[82:83], v[244:245], v[82:83]
	v_mov_b32_e32 v23, v1
	v_pk_add_f32 v[2:3], v[2:3], v[82:83]
	v_mov_b32_e32 v215, v19
	v_pk_fma_f32 v[18:19], v[122:123], s[44:45], v[228:229] neg_lo:[0,0,1] neg_hi:[0,0,1]
	v_pk_fma_f32 v[0:1], v[122:123], s[20:21], v[218:219] neg_lo:[0,0,1] neg_hi:[0,0,1]
	v_pk_add_f32 v[2:3], v[22:23], v[2:3]
	v_mov_b32_e32 v253, v5
	v_mov_b32_e32 v19, v13
	v_pk_fma_f32 v[12:13], v[112:113], s[20:21], v[232:233] neg_lo:[0,0,1] neg_hi:[0,0,1]
	v_mov_b32_e32 v1, v27
	v_pk_add_f32 v[2:3], v[252:253], v[2:3]
	v_mov_b32_e32 v13, v11
	v_pk_fma_f32 v[10:11], v[202:203], s[16:17], v[236:237] neg_lo:[0,0,1] neg_hi:[0,0,1]
	v_mov_b32_e32 v207, v209
	v_pk_add_f32 v[0:1], v[0:1], v[2:3]
	v_pk_fma_f32 v[2:3], v[80:81], s[2:3], v[178:179] neg_lo:[0,0,1] neg_hi:[0,0,1]
	v_mov_b32_e32 v11, v7
	v_mov_b32_e32 v211, v213
	v_pk_add_f32 v[6:7], v[206:207], v[62:63]
	v_mov_b32_e32 v3, v221
	v_pk_fma_f32 v[4:5], v[200:201], s[14:15], v[24:25] neg_lo:[0,0,1] neg_hi:[0,0,1]
	v_pk_add_f32 v[6:7], v[210:211], v[6:7]
	v_mov_b32_e32 v5, v225
	v_pk_add_f32 v[2:3], v[2:3], v[6:7]
	v_pk_fma_f32 v[26:27], v[112:113], s[8:9], v[144:145] neg_lo:[0,0,1] neg_hi:[0,0,1]
	v_pk_add_f32 v[2:3], v[4:5], v[2:3]
	v_mov_b32_e32 v27, v223
	v_pk_add_f32 v[2:3], v[214:215], v[2:3]
	;; [unrolled: 4-line block ×3, first 2 shown]
	v_pk_add_f32 v[2:3], v[12:13], v[2:3]
	v_pk_add_f32 v[0:1], v[76:77], v[0:1]
	;; [unrolled: 1-line block ×3, first 2 shown]
	ds_write2_b64 v9, v[0:1], v[2:3] offset0:170 offset1:187
	v_add_f32_e32 v0, v28, v62
	v_add_f32_e32 v1, v29, v63
	;; [unrolled: 1-line block ×10, first 2 shown]
	v_mov_b32_e32 v10, v42
	v_accvgpr_read_b32 v11, a24
	v_mov_b32_e32 v12, v8
	v_accvgpr_read_b32 v13, a16
	v_pk_add_f32 v[0:1], v[0:1], v[10:11]
	v_accvgpr_read_b32 v2, a18
	v_mov_b32_e32 v3, v35
	v_pk_add_f32 v[0:1], v[0:1], v[12:13]
	v_accvgpr_read_b32 v4, a20
	v_mov_b32_e32 v5, v67
	v_pk_add_f32 v[0:1], v[0:1], v[2:3]
	v_mov_b32_e32 v119, v41
	v_pk_add_f32 v[0:1], v[0:1], v[4:5]
	v_pk_fma_f32 v[2:3], v[56:57], s[30:31], v[184:185] neg_lo:[1,0,0] neg_hi:[1,0,0]
	v_mov_b32_e32 v181, v183
	v_pk_add_f32 v[4:5], v[118:119], v[62:63]
	v_mov_b32_e32 v3, v187
	v_pk_add_f32 v[4:5], v[180:181], v[4:5]
	v_accvgpr_read_b32 v6, a22
	v_mov_b32_e32 v7, v75
	v_pk_add_f32 v[2:3], v[2:3], v[4:5]
	v_mov_b32_e32 v46, v44
	v_pk_add_f32 v[0:1], v[0:1], v[6:7]
	v_pk_add_f32 v[2:3], v[172:173], v[2:3]
	;; [unrolled: 1-line block ×4, first 2 shown]
	v_mov_b32_e32 v18, v54
	v_mov_b32_e32 v19, v50
	v_pk_add_f32 v[0:1], v[0:1], v[116:117]
	v_pk_add_f32 v[2:3], v[124:125], v[2:3]
	v_mov_b32_e32 v50, v55
	v_pk_add_f32 v[0:1], v[0:1], v[18:19]
	v_pk_add_f32 v[2:3], v[142:143], v[2:3]
	v_mov_b32_e32 v157, v159
	v_accvgpr_read_b32 v18, a26
	v_pk_add_f32 v[0:1], v[0:1], v[50:51]
	v_pk_add_f32 v[28:29], v[176:177], v[2:3]
	v_mov_b32_e32 v163, v165
	v_pk_add_f32 v[2:3], v[156:157], v[62:63]
	v_accvgpr_read_b32 v19, a27
	v_pk_add_f32 v[0:1], v[0:1], v[16:17]
	v_pk_add_f32 v[2:3], v[162:163], v[2:3]
	v_mov_b32_e32 v16, v139
	v_mov_b32_e32 v17, v19
	v_pk_add_f32 v[0:1], v[0:1], v[14:15]
	v_pk_fma_f32 v[6:7], v[126:127], s[54:55], v[190:191] neg_lo:[0,0,1] neg_hi:[0,0,1]
	v_pk_fma_f32 v[14:15], v[114:115], s[50:51], v[188:189]
	v_pk_add_f32 v[2:3], v[16:17], v[2:3]
	v_mov_b32_e32 v139, v18
	v_pk_add_f32 v[2:3], v[138:139], v[2:3]
	v_mov_b32_e32 v16, v7
	v_mov_b32_e32 v17, v15
	v_pk_add_f32 v[2:3], v[16:17], v[2:3]
	v_mov_b32_e32 v7, v14
	v_pk_add_f32 v[2:3], v[6:7], v[2:3]
	v_mov_b32_e32 v6, v147
	v_mov_b32_e32 v7, v171
	v_pk_add_f32 v[2:3], v[6:7], v[2:3]
	v_mov_b32_e32 v147, v170
	;; [unrolled: 3-line block ×3, first 2 shown]
	v_pk_add_f32 v[2:3], v[90:91], v[62:63]
	v_mov_b32_e32 v6, v103
	v_pk_add_f32 v[2:3], v[94:95], v[2:3]
	v_mov_b32_e32 v7, v105
	v_pk_fma_f32 v[4:5], v[126:127], s[52:53], v[152:153] neg_lo:[0,0,1] neg_hi:[0,0,1]
	v_pk_fma_f32 v[12:13], v[114:115], s[6:7], v[150:151]
	v_pk_add_f32 v[2:3], v[6:7], v[2:3]
	v_mov_b32_e32 v103, v104
	v_pk_add_f32 v[2:3], v[102:103], v[2:3]
	v_mov_b32_e32 v6, v5
	v_mov_b32_e32 v7, v13
	;; [unrolled: 1-line block ×4, first 2 shown]
	v_pk_add_f32 v[2:3], v[6:7], v[2:3]
	v_mov_b32_e32 v5, v12
	v_pk_mul_f32 v[24:25], v[22:23], s[14:15]
	v_pk_add_f32 v[2:3], v[4:5], v[2:3]
	v_mov_b32_e32 v4, v89
	v_mov_b32_e32 v5, v175
	;; [unrolled: 1-line block ×3, first 2 shown]
	v_pk_add_f32 v[2:3], v[4:5], v[2:3]
	v_mov_b32_e32 v89, v174
	v_accvgpr_read_b32 v75, a19
	v_pk_fma_f32 v[26:27], v[22:23], s[14:15], v[24:25] neg_lo:[1,0,0] neg_hi:[1,0,0]
	v_pk_fma_f32 v[22:23], v[22:23], s[14:15], v[24:25]
	v_pk_fma_f32 v[24:25], v[96:97], s[24:25], v[32:33]
	v_pk_add_f32 v[32:33], v[88:89], v[2:3]
	v_accvgpr_read_b32 v79, a21
	v_pk_add_f32 v[2:3], v[74:75], v[62:63]
	v_mov_b32_e32 v4, v135
	v_pk_add_f32 v[2:3], v[78:79], v[2:3]
	v_mov_b32_e32 v5, v137
	v_pk_fma_f32 v[10:11], v[114:115], s[18:19], v[38:39]
	v_pk_add_f32 v[2:3], v[4:5], v[2:3]
	v_mov_b32_e32 v135, v136
	v_pk_add_f32 v[2:3], v[134:135], v[2:3]
	v_mov_b32_e32 v4, v199
	v_mov_b32_e32 v5, v11
	v_pk_add_f32 v[2:3], v[4:5], v[2:3]
	v_mov_b32_e32 v199, v10
	v_pk_add_f32 v[2:3], v[198:199], v[2:3]
	v_mov_b32_e32 v4, v85
	v_mov_b32_e32 v5, v25
	v_pk_add_f32 v[2:3], v[4:5], v[2:3]
	v_mov_b32_e32 v85, v24
	v_pk_add_f32 v[34:35], v[84:85], v[2:3]
	v_pk_mul_f32 v[2:3], v[70:71], s[6:7] op_sel:[1,0] op_sel_hi:[0,0]
	v_pk_fma_f32 v[4:5], v[68:69], s[2:3], v[2:3] op_sel_hi:[1,0,1] neg_lo:[0,0,1] neg_hi:[0,0,1]
	v_pk_fma_f32 v[6:7], v[68:69], s[2:3], v[2:3] op_sel_hi:[1,0,1]
	v_pk_mul_f32 v[10:11], v[72:73], s[12:13] op_sel:[1,0] op_sel_hi:[0,0]
	v_mov_b32_e32 v5, v7
	v_pk_mul_f32 v[6:7], v[68:69], s[2:3] op_sel_hi:[1,0]
	v_pk_mul_f32 v[12:13], v[64:65], s[8:9] op_sel_hi:[1,0]
	v_mov_b32_e32 v15, v6
	v_mov_b32_e32 v14, v12
	;; [unrolled: 1-line block ×4, first 2 shown]
	v_pk_add_f32 v[14:15], v[14:15], v[16:17]
	v_mov_b32_e32 v6, v13
	v_mov_b32_e32 v2, v15
	v_pk_add_f32 v[16:17], v[2:3], v[62:63]
	v_mov_b32_e32 v2, v11
	v_pk_add_f32 v[2:3], v[6:7], v[2:3] neg_lo:[0,1] neg_hi:[0,1]
	v_pk_add_f32 v[4:5], v[4:5], v[62:63]
	v_pk_add_f32 v[6:7], v[2:3], v[62:63]
	;; [unrolled: 1-line block ×3, first 2 shown]
	v_mov_b32_e32 v6, v7
	v_pk_add_f32 v[2:3], v[2:3], v[6:7]
	v_pk_fma_f32 v[6:7], v[64:65], s[8:9], v[10:11] op_sel_hi:[1,0,1] neg_lo:[0,0,1] neg_hi:[0,0,1]
	v_pk_fma_f32 v[10:11], v[64:65], s[8:9], v[10:11] op_sel_hi:[1,0,1]
	v_accvgpr_read_b32 v12, a14
	v_mov_b32_e32 v7, v11
	v_accvgpr_read_b32 v10, a12
	v_accvgpr_read_b32 v11, a13
	v_pk_add_f32 v[4:5], v[6:7], v[4:5]
	v_mov_b32_e32 v6, v11
	v_pk_add_f32 v[6:7], v[6:7], v[14:15]
	v_accvgpr_read_b32 v15, a11
	v_mov_b32_e32 v67, v107
	v_pk_add_f32 v[6:7], v[10:11], v[6:7]
	v_accvgpr_read_b32 v13, a15
	v_mov_b32_e32 v10, v37
	v_mov_b32_e32 v11, v15
	;; [unrolled: 1-line block ×3, first 2 shown]
	v_pk_add_f32 v[4:5], v[10:11], v[4:5]
	v_pk_mul_f32 v[10:11], v[66:67], s[10:11]
	v_pk_add_f32 v[2:3], v[8:9], v[2:3]
	v_accvgpr_read_b32 v14, a10
	v_mov_b32_e32 v11, v10
	v_pk_add_f32 v[2:3], v[12:13], v[2:3]
	v_pk_fma_f32 v[12:13], v[66:67], s[10:11], v[10:11]
	v_mov_b32_e32 v37, v14
	v_pk_add_f32 v[4:5], v[36:37], v[4:5]
	v_mov_b32_e32 v12, v155
	v_mov_b32_e32 v14, v193
	;; [unrolled: 1-line block ×3, first 2 shown]
	v_pk_add_f32 v[2:3], v[12:13], v[2:3]
	v_mov_b32_e32 v12, v195
	v_pk_add_f32 v[4:5], v[14:15], v[4:5]
	v_mov_b32_e32 v193, v148
	v_pk_add_f32 v[6:7], v[12:13], v[6:7]
	v_pk_add_f32 v[4:5], v[192:193], v[4:5]
	v_mov_b32_e32 v22, v141
	v_pk_add_f32 v[6:7], v[194:195], v[6:7]
	v_pk_add_f32 v[4:5], v[22:23], v[4:5]
	v_mov_b32_e32 v141, v13
	v_mov_b32_e32 v8, v21
	v_pk_add_f32 v[2:3], v[154:155], v[2:3]
	v_pk_add_f32 v[36:37], v[140:141], v[4:5]
	v_mov_b32_e32 v4, v6
	v_mov_b32_e32 v5, v10
	;; [unrolled: 1-line block ×3, first 2 shown]
	v_pk_add_f32 v[6:7], v[8:9], v[6:7]
	v_pk_fma_f32 v[4:5], v[66:67], s[10:11], v[4:5] neg_lo:[0,0,1] neg_hi:[0,0,1]
	v_mov_b32_e32 v133, v2
	v_mov_b32_e32 v7, v5
	v_pk_add_f32 v[2:3], v[130:131], v[132:133]
	ds_write2_b64 v9, v[28:29], v[30:31] offset0:204 offset1:221
	ds_write2_b64 v9, v[32:33], v[34:35] offset0:238 offset1:255
	v_pk_add_f32 v[2:3], v[2:3], v[6:7]
	ds_write2_b64 v9, v[0:1], v[2:3] offset1:17
	ds_write_b64 v9, v[36:37] offset:2176
	v_accvgpr_read_b32 v0, a8
	s_waitcnt lgkmcnt(0)
	s_barrier
	ds_read2_b64 v[4:7], v0 offset0:33 offset1:135
	v_accvgpr_read_b32 v0, a3
	ds_read2_b64 v[8:11], v0 offset0:66 offset1:168
	v_accvgpr_read_b32 v0, a5
	;; [unrolled: 2-line block ×3, first 2 shown]
	v_accvgpr_read_b32 v16, a7
	v_accvgpr_read_b32 v80, a28             ;  Reload Reuse
	v_accvgpr_read_b32 v84, a9
	ds_read2_b64 v[0:3], v0 offset0:132 offset1:234
	ds_read2_b64 v[16:19], v16 offset0:37 offset1:139
	ds_read_b64 v[44:45], v80
	ds_read_b64 v[40:41], v84
	v_accvgpr_read_b32 v79, a23             ;  Reload Reuse
	v_accvgpr_read_b32 v78, a25             ;  Reload Reuse
	s_movk_i32 s2, 0x55
	v_accvgpr_read_b32 v81, a17
	v_cmp_gt_u32_e32 vcc, s2, v78
                                        ; implicit-def: $vgpr39
	s_and_saveexec_b64 s[2:3], vcc
	s_cbranch_execz .LBB0_15
; %bb.14:
	ds_read_b64 v[28:29], v81
	ds_read_b64 v[30:31], v80 offset:3944
	ds_read_b64 v[32:33], v80 offset:6256
	;; [unrolled: 1-line block ×5, first 2 shown]
.LBB0_15:
	s_or_b64 exec, exec, s[2:3]
	v_accvgpr_read_b32 v82, a2
	v_mul_i32_i24_e32 v42, 5, v82
	v_mov_b32_e32 v43, 0
	v_lshl_add_u64 v[20:21], v[42:43], 3, s[4:5]
	global_load_dwordx4 v[46:49], v[20:21], off offset:2176
	global_load_dwordx2 v[22:23], v[20:21], off offset:2208
	global_load_dwordx4 v[50:53], v[20:21], off offset:2192
	v_mul_u32_u24_e32 v20, 5, v78
	v_lshlrev_b32_e32 v24, 3, v20
	global_load_dwordx4 v[54:57], v24, s[4:5] offset:2176
	global_load_dwordx4 v[58:61], v24, s[4:5] offset:2192
	global_load_dwordx2 v[20:21], v24, s[4:5] offset:2208
	s_mov_b32 s2, 0.5
	s_mov_b32 s3, 0x3f5db3d7
	s_waitcnt lgkmcnt(0)
	s_barrier
	s_mov_b32 s10, s3
	s_mov_b32 s8, s3
	;; [unrolled: 1-line block ×3, first 2 shown]
	s_mov_b32 s6, -0.5
	s_mov_b32 s7, s3
	s_waitcnt vmcnt(5)
	v_pk_mul_f32 v[24:25], v[46:47], v[6:7] op_sel:[0,1]
	v_pk_mul_f32 v[26:27], v[48:49], v[10:11] op_sel:[0,1]
	s_waitcnt vmcnt(3)
	v_pk_mul_f32 v[62:63], v[50:51], v[14:15] op_sel:[0,1]
	v_mov_b32_e32 v42, v53
	v_pk_mul_f32 v[64:65], v[18:19], v[22:23] op_sel:[0,1]
	s_waitcnt vmcnt(2)
	v_pk_mul_f32 v[66:67], v[54:55], v[4:5] op_sel:[0,1]
	v_pk_mul_f32 v[68:69], v[56:57], v[8:9] op_sel:[0,1]
	s_waitcnt vmcnt(1)
	v_pk_mul_f32 v[70:71], v[58:59], v[12:13] op_sel:[0,1]
	s_waitcnt vmcnt(0)
	v_pk_mul_f32 v[74:75], v[20:21], v[16:17] op_sel:[0,1]
	v_pk_mul_f32 v[72:73], v[60:61], v[0:1] op_sel:[0,1]
	v_pk_fma_f32 v[76:77], v[46:47], v[6:7], v[24:25] op_sel:[0,0,1] op_sel_hi:[1,0,0]
	v_pk_fma_f32 v[6:7], v[46:47], v[6:7], v[24:25] op_sel:[0,0,1] op_sel_hi:[1,0,0] neg_lo:[1,0,0] neg_hi:[1,0,0]
	v_pk_fma_f32 v[24:25], v[48:49], v[10:11], v[26:27] op_sel:[0,0,1] op_sel_hi:[1,1,0]
	v_pk_fma_f32 v[10:11], v[48:49], v[10:11], v[26:27] op_sel:[0,0,1] op_sel_hi:[1,0,0] neg_lo:[1,0,0] neg_hi:[1,0,0]
	;; [unrolled: 2-line block ×3, first 2 shown]
	v_pk_mul_f32 v[46:47], v[2:3], v[42:43] op_sel_hi:[1,0]
	v_pk_fma_f32 v[48:49], v[18:19], v[22:23], v[64:65] op_sel:[0,0,1] op_sel_hi:[1,1,0]
	v_pk_fma_f32 v[18:19], v[18:19], v[22:23], v[64:65] op_sel:[0,0,1] op_sel_hi:[1,0,0] neg_lo:[0,0,1] neg_hi:[0,0,1]
	v_pk_fma_f32 v[22:23], v[54:55], v[4:5], v[66:67] op_sel:[0,0,1] op_sel_hi:[1,0,0]
	v_pk_fma_f32 v[4:5], v[54:55], v[4:5], v[66:67] op_sel:[0,0,1] op_sel_hi:[1,0,0] neg_lo:[1,0,0] neg_hi:[1,0,0]
	;; [unrolled: 2-line block ×6, first 2 shown]
	v_mov_b32_e32 v25, v11
	v_mov_b32_e32 v27, v15
	v_pk_fma_f32 v[10:11], v[2:3], v[52:53], v[46:47] op_sel:[0,0,1] op_sel_hi:[1,1,0]
	v_pk_fma_f32 v[2:3], v[2:3], v[52:53], v[46:47] op_sel:[0,0,1] op_sel_hi:[1,0,0] neg_lo:[0,0,1] neg_hi:[0,0,1]
	v_mov_b32_e32 v49, v19
	v_mov_b32_e32 v23, v5
	;; [unrolled: 1-line block ×9, first 2 shown]
	v_pk_add_f32 v[12:13], v[26:27], v[48:49]
	v_pk_add_f32 v[18:19], v[44:45], v[50:51]
	;; [unrolled: 1-line block ×4, first 2 shown]
	v_pk_add_f32 v[14:15], v[26:27], v[48:49] neg_lo:[0,1] neg_hi:[0,1]
	v_pk_add_f32 v[16:17], v[76:77], v[26:27]
	v_pk_add_f32 v[26:27], v[54:55], v[58:59] neg_lo:[0,1] neg_hi:[0,1]
	v_fmac_f32_e32 v0, -0.5, v12
	v_fmac_f32_e32 v7, -0.5, v13
	v_pk_add_f32 v[12:13], v[18:19], v[56:57]
	v_fmac_f32_e32 v2, -0.5, v20
	v_pk_add_f32 v[18:19], v[22:23], v[58:59]
	v_fmac_f32_e32 v5, -0.5, v21
	v_fmamk_f32 v22, v27, 0xbf5db3d7, v2
	v_fmac_f32_e32 v2, 0x3f5db3d7, v27
	v_fmamk_f32 v42, v26, 0x3f5db3d7, v5
	v_fmac_f32_e32 v5, 0xbf5db3d7, v26
	v_pk_add_f32 v[26:27], v[12:13], v[18:19]
	v_pk_add_f32 v[46:47], v[50:51], v[56:57]
	ds_write_b64 v80, v[26:27]
	v_pk_add_f32 v[26:27], v[50:51], v[56:57] neg_lo:[0,1] neg_hi:[0,1]
	v_pk_fma_f32 v[20:21], v[46:47], 0.5, v[44:45] op_sel_hi:[1,0,1] neg_lo:[1,0,0] neg_hi:[1,0,0]
	v_pk_mul_f32 v[26:27], v[26:27], s[10:11] op_sel_hi:[1,0]
	v_pk_mul_f32 v[46:47], v[42:43], s[8:9] op_sel_hi:[0,1]
	v_pk_add_f32 v[16:17], v[16:17], v[48:49]
	v_pk_add_f32 v[44:45], v[20:21], v[26:27] op_sel:[0,1] op_sel_hi:[1,0] neg_lo:[0,1] neg_hi:[0,1]
	v_pk_add_f32 v[20:21], v[20:21], v[26:27] op_sel:[0,1] op_sel_hi:[1,0]
	v_pk_fma_f32 v[48:49], v[22:23], s[2:3], v[46:47] neg_lo:[0,0,1] neg_hi:[0,0,1]
	v_pk_fma_f32 v[22:23], v[22:23], s[2:3], v[46:47] op_sel_hi:[0,1,1]
	v_mov_b32_e32 v26, v44
	v_mov_b32_e32 v27, v21
	;; [unrolled: 1-line block ×3, first 2 shown]
	v_pk_add_f32 v[22:23], v[26:27], v[48:49]
	ds_write_b64 v80, v[22:23] offset:2312
	v_mov_b32_e32 v22, v5
	v_pk_mul_f32 v[22:23], v[22:23], s[8:9] op_sel_hi:[0,1]
	v_mov_b32_e32 v11, v3
	v_pk_add_f32 v[8:9], v[40:41], v[24:25]
	v_pk_fma_f32 v[2:3], v[2:3], s[6:7], v[22:23] op_sel_hi:[0,1,1] neg_lo:[0,0,1] neg_hi:[0,0,1]
	v_mov_b32_e32 v21, v45
	v_pk_add_f32 v[12:13], v[12:13], v[18:19] neg_lo:[0,1] neg_hi:[0,1]
	v_pk_add_f32 v[8:9], v[8:9], v[10:11]
	v_pk_add_f32 v[22:23], v[20:21], v[2:3]
	ds_write_b64 v80, v[12:13] offset:6936
	v_pk_add_f32 v[12:13], v[26:27], v[48:49] neg_lo:[0,1] neg_hi:[0,1]
	v_pk_add_f32 v[2:3], v[20:21], v[2:3] neg_lo:[0,1] neg_hi:[0,1]
	v_fmamk_f32 v4, v15, 0xbf5db3d7, v0
	v_fmac_f32_e32 v0, 0x3f5db3d7, v15
	v_fmamk_f32 v6, v14, 0x3f5db3d7, v7
	v_fmac_f32_e32 v7, 0xbf5db3d7, v14
	v_pk_add_f32 v[14:15], v[8:9], v[16:17]
	ds_write_b64 v80, v[22:23] offset:4624
	ds_write_b64 v80, v[12:13] offset:9248
	;; [unrolled: 1-line block ×3, first 2 shown]
	ds_write_b64 v84, v[14:15]
	v_pk_add_f32 v[2:3], v[24:25], v[10:11]
	v_pk_add_f32 v[10:11], v[24:25], v[10:11] neg_lo:[0,1] neg_hi:[0,1]
	v_pk_fma_f32 v[2:3], v[2:3], 0.5, v[40:41] op_sel_hi:[1,0,1] neg_lo:[1,0,0] neg_hi:[1,0,0]
	v_pk_mul_f32 v[10:11], v[10:11], s[10:11] op_sel_hi:[1,0]
	v_pk_mul_f32 v[14:15], v[6:7], s[8:9] op_sel_hi:[0,1]
	v_pk_add_f32 v[12:13], v[2:3], v[10:11] op_sel:[0,1] op_sel_hi:[1,0] neg_lo:[0,1] neg_hi:[0,1]
	v_pk_add_f32 v[2:3], v[2:3], v[10:11] op_sel:[0,1] op_sel_hi:[1,0]
	v_pk_fma_f32 v[18:19], v[4:5], s[2:3], v[14:15] neg_lo:[0,0,1] neg_hi:[0,0,1]
	v_pk_fma_f32 v[4:5], v[4:5], s[2:3], v[14:15] op_sel_hi:[0,1,1]
	v_mov_b32_e32 v10, v12
	v_mov_b32_e32 v11, v3
	;; [unrolled: 1-line block ×3, first 2 shown]
	v_pk_add_f32 v[4:5], v[10:11], v[18:19]
	ds_write_b64 v84, v[4:5] offset:2312
	v_mov_b32_e32 v4, v7
	v_pk_mul_f32 v[4:5], v[4:5], s[8:9] op_sel_hi:[0,1]
	v_pk_fma_f32 v[0:1], v[0:1], s[6:7], v[4:5] op_sel_hi:[0,1,1] neg_lo:[0,0,1] neg_hi:[0,0,1]
	v_mov_b32_e32 v3, v13
	v_pk_add_f32 v[4:5], v[2:3], v[0:1]
	ds_write_b64 v84, v[4:5] offset:4624
	v_pk_add_f32 v[4:5], v[8:9], v[16:17] neg_lo:[0,1] neg_hi:[0,1]
	ds_write_b64 v84, v[4:5] offset:6936
	v_pk_add_f32 v[4:5], v[10:11], v[18:19] neg_lo:[0,1] neg_hi:[0,1]
	v_pk_add_f32 v[0:1], v[2:3], v[0:1] neg_lo:[0,1] neg_hi:[0,1]
	ds_write_b64 v84, v[4:5] offset:9248
	ds_write_b64 v84, v[0:1] offset:11560
	s_mov_b64 s[10:11], exec
	s_and_b64 s[12:13], s[10:11], vcc
	v_accvgpr_read_b32 v22, a4
	s_mov_b64 exec, s[12:13]
	s_cbranch_execz .LBB0_17
; %bb.16:
	v_add_u32_e32 v0, 0xffffffab, v78
	v_cndmask_b32_e32 v0, v0, v22, vcc
	v_mul_i32_i24_e32 v42, 5, v0
	v_lshl_add_u64 v[8:9], v[42:43], 3, s[4:5]
	global_load_dwordx4 v[0:3], v[8:9], off offset:2176
	global_load_dwordx4 v[4:7], v[8:9], off offset:2192
	global_load_dwordx2 v[10:11], v[8:9], off offset:2208
	v_mov_b32_e32 v8, v33
	v_mov_b32_e32 v12, v37
	;; [unrolled: 1-line block ×5, first 2 shown]
	s_mov_b32 s12, s3
	s_waitcnt vmcnt(2)
	v_pk_mul_f32 v[8:9], v[8:9], v[2:3] op_sel_hi:[0,1]
	s_waitcnt vmcnt(1)
	v_pk_mul_f32 v[12:13], v[12:13], v[6:7] op_sel_hi:[0,1]
	v_pk_mul_f32 v[16:17], v[16:17], v[4:5] op_sel_hi:[0,1]
	s_waitcnt vmcnt(0)
	v_pk_mul_f32 v[18:19], v[18:19], v[10:11] op_sel_hi:[0,1]
	v_pk_mul_f32 v[14:15], v[14:15], v[0:1] op_sel_hi:[0,1]
	v_pk_fma_f32 v[20:21], v[32:33], v[2:3], v[8:9] op_sel:[0,0,1] op_sel_hi:[1,1,0]
	v_pk_fma_f32 v[2:3], v[32:33], v[2:3], v[8:9] op_sel:[0,0,1] op_sel_hi:[0,1,0] neg_lo:[1,0,0] neg_hi:[1,0,0]
	v_pk_fma_f32 v[8:9], v[36:37], v[6:7], v[12:13] op_sel:[0,0,1] op_sel_hi:[1,1,0]
	v_pk_fma_f32 v[6:7], v[36:37], v[6:7], v[12:13] op_sel:[0,0,1] op_sel_hi:[0,1,0] neg_lo:[1,0,0] neg_hi:[1,0,0]
	;; [unrolled: 2-line block ×5, first 2 shown]
	v_mov_b32_e32 v13, v5
	v_mov_b32_e32 v17, v11
	;; [unrolled: 1-line block ×5, first 2 shown]
	v_pk_add_f32 v[2:3], v[12:13], v[16:17]
	v_mov_b32_e32 v0, v18
	v_pk_add_f32 v[4:5], v[12:13], v[16:17] neg_lo:[0,1] neg_hi:[0,1]
	v_pk_add_f32 v[6:7], v[28:29], v[20:21]
	v_pk_add_f32 v[10:11], v[18:19], v[12:13]
	v_pk_add_f32 v[14:15], v[20:21], v[8:9] neg_lo:[0,1] neg_hi:[0,1]
	v_fmac_f32_e32 v1, -0.5, v3
	v_pk_add_f32 v[12:13], v[20:21], v[8:9]
	v_fmac_f32_e32 v0, -0.5, v2
	v_pk_add_f32 v[2:3], v[6:7], v[8:9]
	v_pk_add_f32 v[6:7], v[10:11], v[16:17]
	v_pk_mul_f32 v[10:11], v[14:15], s[12:13] op_sel_hi:[1,0]
	v_fmamk_f32 v14, v4, 0xbf5db3d7, v1
	v_fmac_f32_e32 v1, 0x3f5db3d7, v4
	v_pk_fma_f32 v[8:9], -0.5, v[12:13], v[28:29] op_sel_hi:[0,1,1]
	v_fmamk_f32 v12, v5, 0x3f5db3d7, v0
	v_fmac_f32_e32 v0, 0xbf5db3d7, v5
	v_pk_add_f32 v[4:5], v[2:3], v[6:7]
	v_pk_add_f32 v[2:3], v[2:3], v[6:7] neg_lo:[0,1] neg_hi:[0,1]
	v_mov_b32_e32 v6, v1
	v_pk_add_f32 v[16:17], v[8:9], v[10:11] op_sel:[0,1] op_sel_hi:[1,0] neg_lo:[0,1] neg_hi:[0,1]
	v_pk_add_f32 v[8:9], v[8:9], v[10:11] op_sel:[0,1] op_sel_hi:[1,0]
	v_pk_mul_f32 v[10:11], v[14:15], s[8:9] op_sel_hi:[0,1]
	ds_write_b64 v80, v[2:3] offset:8568
	v_pk_mul_f32 v[2:3], v[6:7], s[8:9] op_sel_hi:[0,1]
	v_pk_fma_f32 v[6:7], v[12:13], s[6:7], v[10:11] op_sel_hi:[0,1,1] neg_lo:[0,0,1] neg_hi:[0,0,1]
	v_pk_fma_f32 v[10:11], v[0:1], s[2:3], v[2:3] neg_lo:[0,0,1] neg_hi:[0,0,1]
	v_pk_fma_f32 v[0:1], v[0:1], s[2:3], v[2:3] op_sel_hi:[0,1,1]
	ds_write_b64 v80, v[4:5] offset:1632
	v_mov_b32_e32 v4, v16
	v_mov_b32_e32 v5, v9
	v_mov_b32_e32 v9, v17
	v_mov_b32_e32 v11, v1
	v_pk_add_f32 v[2:3], v[8:9], v[6:7]
	v_pk_add_f32 v[0:1], v[4:5], v[10:11]
	v_pk_add_f32 v[6:7], v[8:9], v[6:7] neg_lo:[0,1] neg_hi:[0,1]
	ds_write_b64 v80, v[2:3] offset:6256
	v_pk_add_f32 v[2:3], v[4:5], v[10:11] neg_lo:[0,1] neg_hi:[0,1]
	ds_write_b64 v80, v[0:1] offset:3944
	ds_write_b64 v80, v[2:3] offset:10880
	;; [unrolled: 1-line block ×3, first 2 shown]
.LBB0_17:
	s_or_b64 exec, exec, s[10:11]
	s_waitcnt lgkmcnt(0)
	s_barrier
	ds_read_b64 v[2:3], v80
	s_add_u32 s2, s4, 0x35a8
	v_lshlrev_b32_e32 v0, 3, v78
	s_addc_u32 s3, s5, 0
	v_sub_u32_e32 v8, 0, v0
	v_cmp_ne_u32_e32 vcc, 0, v78
                                        ; implicit-def: $vgpr6_vgpr7
                                        ; implicit-def: $vgpr5
                                        ; implicit-def: $vgpr0_vgpr1
	s_and_saveexec_b64 s[4:5], vcc
	s_xor_b64 s[4:5], exec, s[4:5]
	s_cbranch_execz .LBB0_19
; %bb.18:
	v_mov_b32_e32 v79, 0
	v_lshl_add_u64 v[0:1], v[78:79], 3, s[2:3]
	global_load_dwordx2 v[0:1], v[0:1], off
	ds_read_b64 v[4:5], v8 offset:13872
	v_mov_b32_e32 v7, 0.5
	v_mov_b32_e32 v10, v7
	s_waitcnt lgkmcnt(0)
	v_pk_add_f32 v[12:13], v[4:5], v[2:3]
	v_pk_add_f32 v[2:3], v[2:3], v[4:5] neg_lo:[0,1] neg_hi:[0,1]
	v_mov_b32_e32 v4, v13
	v_mov_b32_e32 v5, v2
	v_pk_mul_f32 v[14:15], v[4:5], 0.5 op_sel_hi:[1,0]
	s_waitcnt vmcnt(0)
	v_mov_b32_e32 v6, v1
	v_mov_b32_e32 v2, v15
	;; [unrolled: 1-line block ×4, first 2 shown]
	v_pk_mul_f32 v[2:3], v[6:7], v[2:3]
	v_pk_mul_f32 v[4:5], v[0:1], v[14:15] op_sel_hi:[0,1]
	v_pk_fma_f32 v[6:7], v[12:13], v[10:11], v[2:3]
	v_pk_fma_f32 v[2:3], v[12:13], v[10:11], v[2:3] neg_lo:[0,0,1] neg_hi:[0,0,1]
	v_add_f32_e32 v4, v4, v6
	v_sub_f32_e32 v5, v7, v5
	v_pk_fma_f32 v[6:7], v[0:1], v[14:15], v[2:3] op_sel_hi:[0,1,1] neg_lo:[1,0,0] neg_hi:[1,0,0]
	ds_write_b32 v80, v4
	v_mov_b64_e32 v[0:1], v[78:79]
                                        ; implicit-def: $vgpr2_vgpr3
.LBB0_19:
	s_andn2_saveexec_b64 s[4:5], s[4:5]
	s_cbranch_execz .LBB0_21
; %bb.20:
	s_waitcnt lgkmcnt(0)
	v_mov_b32_e32 v0, v3
	v_pk_add_f32 v[4:5], v[2:3], v[0:1] neg_lo:[0,1] neg_hi:[0,1]
	v_add_f32_e32 v2, v3, v2
	v_mov_b32_e32 v5, 0
	ds_read_b32 v6, v5 offset:6940
	v_mov_b64_e32 v[0:1], 0
	ds_write_b32 v80, v2
	s_waitcnt lgkmcnt(1)
	v_xor_b32_e32 v2, 0x80000000, v6
	v_mov_b64_e32 v[6:7], v[4:5]
	ds_write_b32 v5, v2 offset:6940
.LBB0_21:
	s_or_b64 exec, exec, s[4:5]
	v_mov_b32_e32 v83, 0
	s_waitcnt lgkmcnt(0)
	v_lshl_add_u64 v[2:3], v[82:83], 3, s[2:3]
	global_load_dwordx2 v[10:11], v[2:3], off
	v_mov_b32_e32 v23, v83
	v_lshl_add_u64 v[2:3], v[22:23], 3, s[2:3]
	global_load_dwordx2 v[12:13], v[2:3], off
	v_lshl_add_u64 v[2:3], v[0:1], 3, s[2:3]
	global_load_dwordx2 v[14:15], v[2:3], off offset:2448
	global_load_dwordx2 v[16:17], v[2:3], off offset:3264
	ds_write_b32 v80, v5 offset:4
	ds_write_b64 v8, v[6:7] offset:13872
	ds_read_b64 v[6:7], v84
	ds_read_b64 v[18:19], v8 offset:13056
	global_load_dwordx2 v[26:27], v[2:3], off offset:4080
	v_mov_b32_e32 v5, 0.5
	v_mov_b32_e32 v20, v5
	s_movk_i32 s2, 0x1000
	s_waitcnt lgkmcnt(0)
	v_pk_add_f32 v[28:29], v[6:7], v[18:19]
	v_pk_add_f32 v[6:7], v[6:7], v[18:19] neg_lo:[0,1] neg_hi:[0,1]
	v_mov_b32_e32 v18, v29
	v_mov_b32_e32 v19, v6
	v_pk_mul_f32 v[18:19], v[18:19], 0.5 op_sel_hi:[1,0]
	v_add_co_u32_e32 v24, vcc, s2, v2
	v_mov_b32_e32 v6, v19
	v_mov_b32_e32 v29, v18
	v_addc_co_u32_e32 v25, vcc, 0, v3, vcc
	v_mov_b32_e32 v22, v5
	v_cmp_gt_u32_e32 vcc, 51, v78
	s_waitcnt vmcnt(4)
	v_mov_b32_e32 v4, v11
	v_mov_b32_e32 v21, v11
	v_pk_mul_f32 v[6:7], v[4:5], v[6:7]
	s_waitcnt vmcnt(3)
	v_mov_b32_e32 v4, v13
	v_pk_fma_f32 v[30:31], v[28:29], v[20:21], v[6:7]
	v_pk_fma_f32 v[6:7], v[28:29], v[20:21], v[6:7] neg_lo:[0,0,1] neg_hi:[0,0,1]
	v_pk_fma_f32 v[20:21], v[10:11], v[18:19], v[30:31]
	v_pk_fma_f32 v[28:29], v[10:11], v[18:19], v[30:31] op_sel_hi:[0,1,1] neg_lo:[1,0,0] neg_hi:[1,0,0]
	v_mov_b32_e32 v21, v29
	v_pk_fma_f32 v[6:7], v[10:11], v[18:19], v[6:7] op_sel_hi:[0,1,1] neg_lo:[1,0,0] neg_hi:[1,0,0]
	ds_write_b64 v84, v[20:21]
	ds_write_b64 v8, v[6:7] offset:13056
	ds_read_b64 v[6:7], v81
	ds_read_b64 v[10:11], v8 offset:12240
	global_load_dwordx2 v[18:19], v[24:25], off offset:800
	global_load_dwordx2 v[20:21], v[24:25], off offset:1616
	v_mov_b32_e32 v23, v13
	s_waitcnt lgkmcnt(0)
	v_pk_add_f32 v[24:25], v[6:7], v[10:11]
	v_pk_add_f32 v[6:7], v[6:7], v[10:11] neg_lo:[0,1] neg_hi:[0,1]
	v_mov_b32_e32 v10, v25
	v_mov_b32_e32 v11, v6
	v_pk_mul_f32 v[10:11], v[10:11], 0.5 op_sel_hi:[1,0]
	s_nop 0
	v_mov_b32_e32 v6, v11
	v_mov_b32_e32 v25, v10
	v_pk_mul_f32 v[6:7], v[4:5], v[6:7]
	s_waitcnt vmcnt(4)
	v_mov_b32_e32 v4, v15
	v_pk_fma_f32 v[28:29], v[24:25], v[22:23], v[6:7]
	v_pk_fma_f32 v[6:7], v[24:25], v[22:23], v[6:7] neg_lo:[0,0,1] neg_hi:[0,0,1]
	v_pk_fma_f32 v[22:23], v[12:13], v[10:11], v[28:29]
	v_pk_fma_f32 v[24:25], v[12:13], v[10:11], v[28:29] op_sel_hi:[0,1,1] neg_lo:[1,0,0] neg_hi:[1,0,0]
	v_mov_b32_e32 v23, v25
	v_pk_fma_f32 v[6:7], v[12:13], v[10:11], v[6:7] op_sel_hi:[0,1,1] neg_lo:[1,0,0] neg_hi:[1,0,0]
	ds_write_b64 v81, v[22:23]
	ds_write_b64 v8, v[6:7] offset:12240
	ds_read_b64 v[6:7], v80 offset:2448
	ds_read_b64 v[10:11], v8 offset:11424
	v_mov_b32_e32 v12, v5
	v_mov_b32_e32 v13, v15
	s_waitcnt lgkmcnt(0)
	v_pk_add_f32 v[22:23], v[6:7], v[10:11]
	v_pk_add_f32 v[6:7], v[6:7], v[10:11] neg_lo:[0,1] neg_hi:[0,1]
	v_mov_b32_e32 v10, v23
	v_mov_b32_e32 v11, v6
	v_pk_mul_f32 v[10:11], v[10:11], 0.5 op_sel_hi:[1,0]
	s_nop 0
	v_mov_b32_e32 v6, v11
	v_mov_b32_e32 v23, v10
	v_pk_mul_f32 v[6:7], v[4:5], v[6:7]
	s_waitcnt vmcnt(3)
	v_mov_b32_e32 v4, v17
	v_pk_fma_f32 v[24:25], v[22:23], v[12:13], v[6:7]
	v_pk_fma_f32 v[6:7], v[22:23], v[12:13], v[6:7] neg_lo:[0,0,1] neg_hi:[0,0,1]
	v_pk_fma_f32 v[12:13], v[14:15], v[10:11], v[24:25]
	v_pk_fma_f32 v[22:23], v[14:15], v[10:11], v[24:25] op_sel_hi:[0,1,1] neg_lo:[1,0,0] neg_hi:[1,0,0]
	v_mov_b32_e32 v13, v23
	v_pk_fma_f32 v[6:7], v[14:15], v[10:11], v[6:7] op_sel_hi:[0,1,1] neg_lo:[1,0,0] neg_hi:[1,0,0]
	ds_write_b64 v80, v[12:13] offset:2448
	ds_write_b64 v8, v[6:7] offset:11424
	ds_read_b64 v[6:7], v80 offset:3264
	ds_read_b64 v[10:11], v8 offset:10608
	v_mov_b32_e32 v12, v5
	v_mov_b32_e32 v13, v17
	s_waitcnt lgkmcnt(0)
	v_pk_add_f32 v[14:15], v[6:7], v[10:11]
	v_pk_add_f32 v[6:7], v[6:7], v[10:11] neg_lo:[0,1] neg_hi:[0,1]
	v_mov_b32_e32 v10, v15
	v_mov_b32_e32 v11, v6
	v_pk_mul_f32 v[10:11], v[10:11], 0.5 op_sel_hi:[1,0]
	s_nop 0
	v_mov_b32_e32 v6, v11
	v_mov_b32_e32 v15, v10
	v_pk_mul_f32 v[6:7], v[4:5], v[6:7]
	s_waitcnt vmcnt(2)
	v_mov_b32_e32 v4, v27
	v_pk_fma_f32 v[22:23], v[14:15], v[12:13], v[6:7]
	v_pk_fma_f32 v[6:7], v[14:15], v[12:13], v[6:7] neg_lo:[0,0,1] neg_hi:[0,0,1]
	v_pk_fma_f32 v[12:13], v[16:17], v[10:11], v[22:23]
	v_pk_fma_f32 v[14:15], v[16:17], v[10:11], v[22:23] op_sel_hi:[0,1,1] neg_lo:[1,0,0] neg_hi:[1,0,0]
	v_mov_b32_e32 v13, v15
	v_pk_fma_f32 v[6:7], v[16:17], v[10:11], v[6:7] op_sel_hi:[0,1,1] neg_lo:[1,0,0] neg_hi:[1,0,0]
	ds_write_b64 v80, v[12:13] offset:3264
	;; [unrolled: 24-line block ×4, first 2 shown]
	ds_write_b64 v8, v[6:7] offset:8976
	ds_read_b64 v[6:7], v80 offset:5712
	ds_read_b64 v[10:11], v8 offset:8160
	v_mov_b32_e32 v12, v5
	v_mov_b32_e32 v13, v21
	s_waitcnt lgkmcnt(0)
	v_pk_add_f32 v[14:15], v[6:7], v[10:11]
	v_pk_add_f32 v[6:7], v[6:7], v[10:11] neg_lo:[0,1] neg_hi:[0,1]
	v_mov_b32_e32 v10, v15
	v_mov_b32_e32 v11, v6
	v_pk_mul_f32 v[10:11], v[10:11], 0.5 op_sel_hi:[1,0]
	s_nop 0
	v_mov_b32_e32 v6, v11
	v_mov_b32_e32 v15, v10
	v_pk_mul_f32 v[6:7], v[4:5], v[6:7]
	s_nop 0
	v_pk_fma_f32 v[16:17], v[14:15], v[12:13], v[6:7]
	v_pk_fma_f32 v[6:7], v[14:15], v[12:13], v[6:7] neg_lo:[0,0,1] neg_hi:[0,0,1]
	v_pk_fma_f32 v[12:13], v[20:21], v[10:11], v[16:17]
	v_pk_fma_f32 v[14:15], v[20:21], v[10:11], v[16:17] op_sel_hi:[0,1,1] neg_lo:[1,0,0] neg_hi:[1,0,0]
	v_mov_b32_e32 v13, v15
	v_pk_fma_f32 v[6:7], v[20:21], v[10:11], v[6:7] op_sel_hi:[0,1,1] neg_lo:[1,0,0] neg_hi:[1,0,0]
	ds_write_b64 v80, v[12:13] offset:5712
	ds_write_b64 v8, v[6:7] offset:8160
	s_and_saveexec_b64 s[2:3], vcc
	s_cbranch_execz .LBB0_23
; %bb.22:
	v_add_co_u32_e32 v2, vcc, 0x1000, v2
	v_mov_b32_e32 v12, v5
	s_nop 0
	v_addc_co_u32_e32 v3, vcc, 0, v3, vcc
	global_load_dwordx2 v[2:3], v[2:3], off offset:2432
	ds_read_b64 v[6:7], v80 offset:6528
	ds_read_b64 v[10:11], v8 offset:7344
	s_waitcnt lgkmcnt(0)
	v_pk_add_f32 v[14:15], v[6:7], v[10:11]
	v_pk_add_f32 v[6:7], v[6:7], v[10:11] neg_lo:[0,1] neg_hi:[0,1]
	v_mov_b32_e32 v10, v15
	v_mov_b32_e32 v11, v6
	v_pk_mul_f32 v[10:11], v[10:11], 0.5 op_sel_hi:[1,0]
	s_waitcnt vmcnt(0)
	v_mov_b32_e32 v4, v3
	v_mov_b32_e32 v6, v11
	;; [unrolled: 1-line block ×4, first 2 shown]
	v_pk_mul_f32 v[4:5], v[4:5], v[6:7]
	s_nop 0
	v_pk_fma_f32 v[6:7], v[14:15], v[12:13], v[4:5]
	v_pk_fma_f32 v[4:5], v[14:15], v[12:13], v[4:5] neg_lo:[0,0,1] neg_hi:[0,0,1]
	v_pk_fma_f32 v[12:13], v[2:3], v[10:11], v[6:7]
	v_pk_fma_f32 v[6:7], v[2:3], v[10:11], v[6:7] op_sel_hi:[0,1,1] neg_lo:[1,0,0] neg_hi:[1,0,0]
	v_mov_b32_e32 v13, v7
	v_pk_fma_f32 v[2:3], v[2:3], v[10:11], v[4:5] op_sel_hi:[0,1,1] neg_lo:[1,0,0] neg_hi:[1,0,0]
	ds_write_b64 v80, v[12:13] offset:6528
	ds_write_b64 v8, v[2:3] offset:7344
.LBB0_23:
	s_or_b64 exec, exec, s[2:3]
	s_waitcnt lgkmcnt(0)
	s_barrier
	s_and_saveexec_b64 s[2:3], s[0:1]
	s_cbranch_execz .LBB0_26
; %bb.24:
	v_accvgpr_read_b32 v3, a1
	v_accvgpr_read_b32 v2, a0
	v_lshl_add_u64 v[12:13], v[0:1], 3, v[2:3]
	ds_read2_b64 v[0:3], v80 offset1:102
	v_add_u32_e32 v4, 0x400, v80
	ds_read2_b64 v[4:7], v4 offset0:76 offset1:178
	v_add_u32_e32 v8, 0x800, v80
	ds_read2_b64 v[8:11], v8 offset0:152 offset1:254
	s_waitcnt lgkmcnt(2)
	global_store_dwordx2 v[12:13], v[0:1], off
	global_store_dwordx2 v[12:13], v[2:3], off offset:816
	s_waitcnt lgkmcnt(1)
	global_store_dwordx2 v[12:13], v[4:5], off offset:1632
	global_store_dwordx2 v[12:13], v[6:7], off offset:2448
	s_waitcnt lgkmcnt(0)
	global_store_dwordx2 v[12:13], v[8:9], off offset:3264
	global_store_dwordx2 v[12:13], v[10:11], off offset:4080
	v_add_u32_e32 v0, 0x1000, v80
	ds_read2_b64 v[0:3], v0 offset0:100 offset1:202
	v_add_u32_e32 v4, 0x1800, v80
	ds_read2_b64 v[4:7], v4 offset0:48 offset1:150
	v_add_co_u32_e32 v14, vcc, 0x1000, v12
	v_add_u32_e32 v8, 0x1c00, v80
	s_nop 0
	v_addc_co_u32_e32 v15, vcc, 0, v13, vcc
	ds_read2_b64 v[8:11], v8 offset0:124 offset1:226
	s_waitcnt lgkmcnt(2)
	global_store_dwordx2 v[14:15], v[0:1], off offset:800
	global_store_dwordx2 v[14:15], v[2:3], off offset:1616
	s_waitcnt lgkmcnt(1)
	global_store_dwordx2 v[14:15], v[4:5], off offset:2432
	global_store_dwordx2 v[14:15], v[6:7], off offset:3248
	s_waitcnt lgkmcnt(0)
	global_store_dwordx2 v[14:15], v[8:9], off offset:4064
	v_add_u32_e32 v0, 0x2400, v80
	ds_read2_b64 v[0:3], v0 offset0:72 offset1:174
	v_add_u32_e32 v4, 0x2800, v80
	v_add_co_u32_e32 v8, vcc, 0x2000, v12
	ds_read2_b64 v[4:7], v4 offset0:148 offset1:250
	s_nop 0
	v_addc_co_u32_e32 v9, vcc, 0, v13, vcc
	global_store_dwordx2 v[8:9], v[10:11], off offset:784
	s_waitcnt lgkmcnt(1)
	global_store_dwordx2 v[8:9], v[0:1], off offset:1600
	global_store_dwordx2 v[8:9], v[2:3], off offset:2416
	s_waitcnt lgkmcnt(0)
	global_store_dwordx2 v[8:9], v[4:5], off offset:3232
	global_store_dwordx2 v[8:9], v[6:7], off offset:4048
	ds_read_b64 v[0:1], v80 offset:13056
	v_add_co_u32_e32 v2, vcc, 0x3000, v12
	s_movk_i32 s0, 0x65
	s_nop 0
	v_addc_co_u32_e32 v3, vcc, 0, v13, vcc
	v_cmp_eq_u32_e32 vcc, s0, v78
	s_waitcnt lgkmcnt(0)
	global_store_dwordx2 v[2:3], v[0:1], off offset:768
	s_and_b64 exec, exec, vcc
	s_cbranch_execz .LBB0_26
; %bb.25:
	v_mov_b32_e32 v0, 0
	ds_read_b64 v[0:1], v0 offset:13872
	v_accvgpr_read_b32 v3, a1
	v_accvgpr_read_b32 v2, a0
	v_add_co_u32_e32 v2, vcc, 0x3000, v2
	s_nop 1
	v_addc_co_u32_e32 v3, vcc, 0, v3, vcc
	s_waitcnt lgkmcnt(0)
	global_store_dwordx2 v[2:3], v[0:1], off offset:1584
.LBB0_26:
	s_endpgm
	.section	.rodata,"a",@progbits
	.p2align	6, 0x0
	.amdhsa_kernel fft_rtc_back_len1734_factors_17_17_6_wgs_102_tpt_102_halfLds_sp_ip_CI_unitstride_sbrr_R2C_dirReg
		.amdhsa_group_segment_fixed_size 0
		.amdhsa_private_segment_fixed_size 0
		.amdhsa_kernarg_size 88
		.amdhsa_user_sgpr_count 2
		.amdhsa_user_sgpr_dispatch_ptr 0
		.amdhsa_user_sgpr_queue_ptr 0
		.amdhsa_user_sgpr_kernarg_segment_ptr 1
		.amdhsa_user_sgpr_dispatch_id 0
		.amdhsa_user_sgpr_kernarg_preload_length 0
		.amdhsa_user_sgpr_kernarg_preload_offset 0
		.amdhsa_user_sgpr_private_segment_size 0
		.amdhsa_uses_dynamic_stack 0
		.amdhsa_enable_private_segment 0
		.amdhsa_system_sgpr_workgroup_id_x 1
		.amdhsa_system_sgpr_workgroup_id_y 0
		.amdhsa_system_sgpr_workgroup_id_z 0
		.amdhsa_system_sgpr_workgroup_info 0
		.amdhsa_system_vgpr_workitem_id 0
		.amdhsa_next_free_vgpr 285
		.amdhsa_next_free_sgpr 58
		.amdhsa_accum_offset 256
		.amdhsa_reserve_vcc 1
		.amdhsa_float_round_mode_32 0
		.amdhsa_float_round_mode_16_64 0
		.amdhsa_float_denorm_mode_32 3
		.amdhsa_float_denorm_mode_16_64 3
		.amdhsa_dx10_clamp 1
		.amdhsa_ieee_mode 1
		.amdhsa_fp16_overflow 0
		.amdhsa_tg_split 0
		.amdhsa_exception_fp_ieee_invalid_op 0
		.amdhsa_exception_fp_denorm_src 0
		.amdhsa_exception_fp_ieee_div_zero 0
		.amdhsa_exception_fp_ieee_overflow 0
		.amdhsa_exception_fp_ieee_underflow 0
		.amdhsa_exception_fp_ieee_inexact 0
		.amdhsa_exception_int_div_zero 0
	.end_amdhsa_kernel
	.text
.Lfunc_end0:
	.size	fft_rtc_back_len1734_factors_17_17_6_wgs_102_tpt_102_halfLds_sp_ip_CI_unitstride_sbrr_R2C_dirReg, .Lfunc_end0-fft_rtc_back_len1734_factors_17_17_6_wgs_102_tpt_102_halfLds_sp_ip_CI_unitstride_sbrr_R2C_dirReg
                                        ; -- End function
	.section	.AMDGPU.csdata,"",@progbits
; Kernel info:
; codeLenInByte = 15324
; NumSgprs: 64
; NumVgprs: 256
; NumAgprs: 29
; TotalNumVgprs: 285
; ScratchSize: 0
; MemoryBound: 0
; FloatMode: 240
; IeeeMode: 1
; LDSByteSize: 0 bytes/workgroup (compile time only)
; SGPRBlocks: 7
; VGPRBlocks: 35
; NumSGPRsForWavesPerEU: 64
; NumVGPRsForWavesPerEU: 285
; AccumOffset: 256
; Occupancy: 1
; WaveLimiterHint : 1
; COMPUTE_PGM_RSRC2:SCRATCH_EN: 0
; COMPUTE_PGM_RSRC2:USER_SGPR: 2
; COMPUTE_PGM_RSRC2:TRAP_HANDLER: 0
; COMPUTE_PGM_RSRC2:TGID_X_EN: 1
; COMPUTE_PGM_RSRC2:TGID_Y_EN: 0
; COMPUTE_PGM_RSRC2:TGID_Z_EN: 0
; COMPUTE_PGM_RSRC2:TIDIG_COMP_CNT: 0
; COMPUTE_PGM_RSRC3_GFX90A:ACCUM_OFFSET: 63
; COMPUTE_PGM_RSRC3_GFX90A:TG_SPLIT: 0
	.text
	.p2alignl 6, 3212836864
	.fill 256, 4, 3212836864
	.type	__hip_cuid_8591c29da5fe6660,@object ; @__hip_cuid_8591c29da5fe6660
	.section	.bss,"aw",@nobits
	.globl	__hip_cuid_8591c29da5fe6660
__hip_cuid_8591c29da5fe6660:
	.byte	0                               ; 0x0
	.size	__hip_cuid_8591c29da5fe6660, 1

	.ident	"AMD clang version 19.0.0git (https://github.com/RadeonOpenCompute/llvm-project roc-6.4.0 25133 c7fe45cf4b819c5991fe208aaa96edf142730f1d)"
	.section	".note.GNU-stack","",@progbits
	.addrsig
	.addrsig_sym __hip_cuid_8591c29da5fe6660
	.amdgpu_metadata
---
amdhsa.kernels:
  - .agpr_count:     29
    .args:
      - .actual_access:  read_only
        .address_space:  global
        .offset:         0
        .size:           8
        .value_kind:     global_buffer
      - .offset:         8
        .size:           8
        .value_kind:     by_value
      - .actual_access:  read_only
        .address_space:  global
        .offset:         16
        .size:           8
        .value_kind:     global_buffer
      - .actual_access:  read_only
        .address_space:  global
        .offset:         24
        .size:           8
        .value_kind:     global_buffer
      - .offset:         32
        .size:           8
        .value_kind:     by_value
      - .actual_access:  read_only
        .address_space:  global
        .offset:         40
        .size:           8
        .value_kind:     global_buffer
      - .actual_access:  read_only
        .address_space:  global
        .offset:         48
        .size:           8
        .value_kind:     global_buffer
      - .offset:         56
        .size:           4
        .value_kind:     by_value
      - .actual_access:  read_only
        .address_space:  global
        .offset:         64
        .size:           8
        .value_kind:     global_buffer
      - .actual_access:  read_only
        .address_space:  global
        .offset:         72
        .size:           8
        .value_kind:     global_buffer
      - .address_space:  global
        .offset:         80
        .size:           8
        .value_kind:     global_buffer
    .group_segment_fixed_size: 0
    .kernarg_segment_align: 8
    .kernarg_segment_size: 88
    .language:       OpenCL C
    .language_version:
      - 2
      - 0
    .max_flat_workgroup_size: 102
    .name:           fft_rtc_back_len1734_factors_17_17_6_wgs_102_tpt_102_halfLds_sp_ip_CI_unitstride_sbrr_R2C_dirReg
    .private_segment_fixed_size: 0
    .sgpr_count:     64
    .sgpr_spill_count: 0
    .symbol:         fft_rtc_back_len1734_factors_17_17_6_wgs_102_tpt_102_halfLds_sp_ip_CI_unitstride_sbrr_R2C_dirReg.kd
    .uniform_work_group_size: 1
    .uses_dynamic_stack: false
    .vgpr_count:     285
    .vgpr_spill_count: 3
    .wavefront_size: 64
amdhsa.target:   amdgcn-amd-amdhsa--gfx950
amdhsa.version:
  - 1
  - 2
...

	.end_amdgpu_metadata
